;; amdgpu-corpus repo=ROCm/rocFFT kind=compiled arch=gfx1201 opt=O3
	.text
	.amdgcn_target "amdgcn-amd-amdhsa--gfx1201"
	.amdhsa_code_object_version 6
	.protected	fft_rtc_back_len224_factors_7_2_2_2_2_2_wgs_64_tpt_16_halfLds_dp_op_CI_CI_unitstride_sbrr_R2C_dirReg ; -- Begin function fft_rtc_back_len224_factors_7_2_2_2_2_2_wgs_64_tpt_16_halfLds_dp_op_CI_CI_unitstride_sbrr_R2C_dirReg
	.globl	fft_rtc_back_len224_factors_7_2_2_2_2_2_wgs_64_tpt_16_halfLds_dp_op_CI_CI_unitstride_sbrr_R2C_dirReg
	.p2align	8
	.type	fft_rtc_back_len224_factors_7_2_2_2_2_2_wgs_64_tpt_16_halfLds_dp_op_CI_CI_unitstride_sbrr_R2C_dirReg,@function
fft_rtc_back_len224_factors_7_2_2_2_2_2_wgs_64_tpt_16_halfLds_dp_op_CI_CI_unitstride_sbrr_R2C_dirReg: ; @fft_rtc_back_len224_factors_7_2_2_2_2_2_wgs_64_tpt_16_halfLds_dp_op_CI_CI_unitstride_sbrr_R2C_dirReg
; %bb.0:
	s_clause 0x2
	s_load_b128 s[8:11], s[0:1], 0x0
	s_load_b128 s[4:7], s[0:1], 0x58
	;; [unrolled: 1-line block ×3, first 2 shown]
	v_lshrrev_b32_e32 v7, 4, v0
	v_mov_b32_e32 v3, 0
	v_mov_b32_e32 v1, 0
	;; [unrolled: 1-line block ×3, first 2 shown]
	s_delay_alu instid0(VALU_DEP_4) | instskip(NEXT) | instid1(VALU_DEP_4)
	v_lshl_or_b32 v5, ttmp9, 2, v7
	v_mov_b32_e32 v6, v3
	s_wait_kmcnt 0x0
	v_cmp_lt_u64_e64 s2, s[10:11], 2
	s_delay_alu instid0(VALU_DEP_1)
	s_and_b32 vcc_lo, exec_lo, s2
	s_cbranch_vccnz .LBB0_8
; %bb.1:
	s_load_b64 s[2:3], s[0:1], 0x10
	v_mov_b32_e32 v1, 0
	v_mov_b32_e32 v2, 0
	s_add_nc_u64 s[16:17], s[14:15], 8
	s_add_nc_u64 s[18:19], s[12:13], 8
	s_mov_b64 s[20:21], 1
	s_delay_alu instid0(VALU_DEP_1)
	v_dual_mov_b32 v9, v2 :: v_dual_mov_b32 v8, v1
	s_wait_kmcnt 0x0
	s_add_nc_u64 s[22:23], s[2:3], 8
	s_mov_b32 s3, 0
.LBB0_2:                                ; =>This Inner Loop Header: Depth=1
	s_load_b64 s[24:25], s[22:23], 0x0
                                        ; implicit-def: $vgpr12_vgpr13
	s_mov_b32 s2, exec_lo
	s_wait_kmcnt 0x0
	v_or_b32_e32 v4, s25, v6
	s_delay_alu instid0(VALU_DEP_1)
	v_cmpx_ne_u64_e32 0, v[3:4]
	s_wait_alu 0xfffe
	s_xor_b32 s26, exec_lo, s2
	s_cbranch_execz .LBB0_4
; %bb.3:                                ;   in Loop: Header=BB0_2 Depth=1
	s_cvt_f32_u32 s2, s24
	s_cvt_f32_u32 s27, s25
	s_sub_nc_u64 s[30:31], 0, s[24:25]
	s_wait_alu 0xfffe
	s_delay_alu instid0(SALU_CYCLE_1) | instskip(SKIP_1) | instid1(SALU_CYCLE_2)
	s_fmamk_f32 s2, s27, 0x4f800000, s2
	s_wait_alu 0xfffe
	v_s_rcp_f32 s2, s2
	s_delay_alu instid0(TRANS32_DEP_1) | instskip(SKIP_1) | instid1(SALU_CYCLE_2)
	s_mul_f32 s2, s2, 0x5f7ffffc
	s_wait_alu 0xfffe
	s_mul_f32 s27, s2, 0x2f800000
	s_wait_alu 0xfffe
	s_delay_alu instid0(SALU_CYCLE_2) | instskip(SKIP_1) | instid1(SALU_CYCLE_2)
	s_trunc_f32 s27, s27
	s_wait_alu 0xfffe
	s_fmamk_f32 s2, s27, 0xcf800000, s2
	s_cvt_u32_f32 s29, s27
	s_wait_alu 0xfffe
	s_delay_alu instid0(SALU_CYCLE_1) | instskip(SKIP_1) | instid1(SALU_CYCLE_2)
	s_cvt_u32_f32 s28, s2
	s_wait_alu 0xfffe
	s_mul_u64 s[34:35], s[30:31], s[28:29]
	s_wait_alu 0xfffe
	s_mul_hi_u32 s37, s28, s35
	s_mul_i32 s36, s28, s35
	s_mul_hi_u32 s2, s28, s34
	s_mul_i32 s33, s29, s34
	s_wait_alu 0xfffe
	s_add_nc_u64 s[36:37], s[2:3], s[36:37]
	s_mul_hi_u32 s27, s29, s34
	s_mul_hi_u32 s38, s29, s35
	s_add_co_u32 s2, s36, s33
	s_wait_alu 0xfffe
	s_add_co_ci_u32 s2, s37, s27
	s_mul_i32 s34, s29, s35
	s_add_co_ci_u32 s35, s38, 0
	s_wait_alu 0xfffe
	s_add_nc_u64 s[34:35], s[2:3], s[34:35]
	s_wait_alu 0xfffe
	v_add_co_u32 v4, s2, s28, s34
	s_delay_alu instid0(VALU_DEP_1) | instskip(SKIP_1) | instid1(VALU_DEP_1)
	s_cmp_lg_u32 s2, 0
	s_add_co_ci_u32 s29, s29, s35
	v_readfirstlane_b32 s28, v4
	s_wait_alu 0xfffe
	s_delay_alu instid0(VALU_DEP_1)
	s_mul_u64 s[30:31], s[30:31], s[28:29]
	s_wait_alu 0xfffe
	s_mul_hi_u32 s35, s28, s31
	s_mul_i32 s34, s28, s31
	s_mul_hi_u32 s2, s28, s30
	s_mul_i32 s33, s29, s30
	s_wait_alu 0xfffe
	s_add_nc_u64 s[34:35], s[2:3], s[34:35]
	s_mul_hi_u32 s27, s29, s30
	s_mul_hi_u32 s28, s29, s31
	s_wait_alu 0xfffe
	s_add_co_u32 s2, s34, s33
	s_add_co_ci_u32 s2, s35, s27
	s_mul_i32 s30, s29, s31
	s_add_co_ci_u32 s31, s28, 0
	s_wait_alu 0xfffe
	s_add_nc_u64 s[30:31], s[2:3], s[30:31]
	s_wait_alu 0xfffe
	v_add_co_u32 v4, s2, v4, s30
	s_delay_alu instid0(VALU_DEP_1) | instskip(SKIP_1) | instid1(VALU_DEP_1)
	s_cmp_lg_u32 s2, 0
	s_add_co_ci_u32 s2, s29, s31
	v_mul_hi_u32 v16, v5, v4
	s_wait_alu 0xfffe
	v_mad_co_u64_u32 v[10:11], null, v5, s2, 0
	v_mad_co_u64_u32 v[12:13], null, v6, v4, 0
	;; [unrolled: 1-line block ×3, first 2 shown]
	s_delay_alu instid0(VALU_DEP_3) | instskip(SKIP_1) | instid1(VALU_DEP_4)
	v_add_co_u32 v4, vcc_lo, v16, v10
	s_wait_alu 0xfffd
	v_add_co_ci_u32_e32 v10, vcc_lo, 0, v11, vcc_lo
	s_delay_alu instid0(VALU_DEP_2) | instskip(SKIP_1) | instid1(VALU_DEP_2)
	v_add_co_u32 v4, vcc_lo, v4, v12
	s_wait_alu 0xfffd
	v_add_co_ci_u32_e32 v4, vcc_lo, v10, v13, vcc_lo
	s_wait_alu 0xfffd
	v_add_co_ci_u32_e32 v10, vcc_lo, 0, v15, vcc_lo
	s_delay_alu instid0(VALU_DEP_2) | instskip(SKIP_1) | instid1(VALU_DEP_2)
	v_add_co_u32 v4, vcc_lo, v4, v14
	s_wait_alu 0xfffd
	v_add_co_ci_u32_e32 v12, vcc_lo, 0, v10, vcc_lo
	s_delay_alu instid0(VALU_DEP_2) | instskip(SKIP_1) | instid1(VALU_DEP_3)
	v_mul_lo_u32 v13, s25, v4
	v_mad_co_u64_u32 v[10:11], null, s24, v4, 0
	v_mul_lo_u32 v14, s24, v12
	s_delay_alu instid0(VALU_DEP_2) | instskip(NEXT) | instid1(VALU_DEP_2)
	v_sub_co_u32 v10, vcc_lo, v5, v10
	v_add3_u32 v11, v11, v14, v13
	s_delay_alu instid0(VALU_DEP_1) | instskip(SKIP_1) | instid1(VALU_DEP_1)
	v_sub_nc_u32_e32 v13, v6, v11
	s_wait_alu 0xfffd
	v_subrev_co_ci_u32_e64 v13, s2, s25, v13, vcc_lo
	v_add_co_u32 v14, s2, v4, 2
	s_wait_alu 0xf1ff
	v_add_co_ci_u32_e64 v15, s2, 0, v12, s2
	v_sub_co_u32 v16, s2, v10, s24
	v_sub_co_ci_u32_e32 v11, vcc_lo, v6, v11, vcc_lo
	s_wait_alu 0xf1ff
	v_subrev_co_ci_u32_e64 v13, s2, 0, v13, s2
	s_delay_alu instid0(VALU_DEP_3) | instskip(NEXT) | instid1(VALU_DEP_3)
	v_cmp_le_u32_e32 vcc_lo, s24, v16
	v_cmp_eq_u32_e64 s2, s25, v11
	s_wait_alu 0xfffd
	v_cndmask_b32_e64 v16, 0, -1, vcc_lo
	v_cmp_le_u32_e32 vcc_lo, s25, v13
	s_wait_alu 0xfffd
	v_cndmask_b32_e64 v17, 0, -1, vcc_lo
	v_cmp_le_u32_e32 vcc_lo, s24, v10
	;; [unrolled: 3-line block ×3, first 2 shown]
	s_wait_alu 0xfffd
	v_cndmask_b32_e64 v18, 0, -1, vcc_lo
	v_cmp_eq_u32_e32 vcc_lo, s25, v13
	s_wait_alu 0xf1ff
	s_delay_alu instid0(VALU_DEP_2)
	v_cndmask_b32_e64 v10, v18, v10, s2
	s_wait_alu 0xfffd
	v_cndmask_b32_e32 v13, v17, v16, vcc_lo
	v_add_co_u32 v16, vcc_lo, v4, 1
	s_wait_alu 0xfffd
	v_add_co_ci_u32_e32 v17, vcc_lo, 0, v12, vcc_lo
	s_delay_alu instid0(VALU_DEP_3) | instskip(SKIP_1) | instid1(VALU_DEP_2)
	v_cmp_ne_u32_e32 vcc_lo, 0, v13
	s_wait_alu 0xfffd
	v_dual_cndmask_b32 v14, v16, v14 :: v_dual_cndmask_b32 v11, v17, v15
	v_cmp_ne_u32_e32 vcc_lo, 0, v10
	s_wait_alu 0xfffd
	s_delay_alu instid0(VALU_DEP_2) | instskip(NEXT) | instid1(VALU_DEP_3)
	v_cndmask_b32_e32 v13, v12, v11, vcc_lo
	v_cndmask_b32_e32 v12, v4, v14, vcc_lo
.LBB0_4:                                ;   in Loop: Header=BB0_2 Depth=1
	s_wait_alu 0xfffe
	s_and_not1_saveexec_b32 s2, s26
	s_cbranch_execz .LBB0_6
; %bb.5:                                ;   in Loop: Header=BB0_2 Depth=1
	v_cvt_f32_u32_e32 v4, s24
	s_sub_co_i32 s26, 0, s24
	v_mov_b32_e32 v13, v3
	s_delay_alu instid0(VALU_DEP_2) | instskip(NEXT) | instid1(TRANS32_DEP_1)
	v_rcp_iflag_f32_e32 v4, v4
	v_mul_f32_e32 v4, 0x4f7ffffe, v4
	s_delay_alu instid0(VALU_DEP_1) | instskip(SKIP_1) | instid1(VALU_DEP_1)
	v_cvt_u32_f32_e32 v4, v4
	s_wait_alu 0xfffe
	v_mul_lo_u32 v10, s26, v4
	s_delay_alu instid0(VALU_DEP_1) | instskip(NEXT) | instid1(VALU_DEP_1)
	v_mul_hi_u32 v10, v4, v10
	v_add_nc_u32_e32 v4, v4, v10
	s_delay_alu instid0(VALU_DEP_1) | instskip(NEXT) | instid1(VALU_DEP_1)
	v_mul_hi_u32 v4, v5, v4
	v_mul_lo_u32 v10, v4, s24
	v_add_nc_u32_e32 v11, 1, v4
	s_delay_alu instid0(VALU_DEP_2) | instskip(NEXT) | instid1(VALU_DEP_1)
	v_sub_nc_u32_e32 v10, v5, v10
	v_subrev_nc_u32_e32 v12, s24, v10
	v_cmp_le_u32_e32 vcc_lo, s24, v10
	s_wait_alu 0xfffd
	s_delay_alu instid0(VALU_DEP_2) | instskip(SKIP_1) | instid1(VALU_DEP_2)
	v_cndmask_b32_e32 v10, v10, v12, vcc_lo
	v_cndmask_b32_e32 v4, v4, v11, vcc_lo
	v_cmp_le_u32_e32 vcc_lo, s24, v10
	s_delay_alu instid0(VALU_DEP_2) | instskip(SKIP_1) | instid1(VALU_DEP_1)
	v_add_nc_u32_e32 v11, 1, v4
	s_wait_alu 0xfffd
	v_cndmask_b32_e32 v12, v4, v11, vcc_lo
.LBB0_6:                                ;   in Loop: Header=BB0_2 Depth=1
	s_wait_alu 0xfffe
	s_or_b32 exec_lo, exec_lo, s2
	v_mul_lo_u32 v4, v13, s24
	s_delay_alu instid0(VALU_DEP_2)
	v_mul_lo_u32 v14, v12, s25
	s_load_b64 s[26:27], s[18:19], 0x0
	v_mad_co_u64_u32 v[10:11], null, v12, s24, 0
	s_load_b64 s[24:25], s[16:17], 0x0
	s_add_nc_u64 s[20:21], s[20:21], 1
	s_add_nc_u64 s[16:17], s[16:17], 8
	s_wait_alu 0xfffe
	v_cmp_ge_u64_e64 s2, s[20:21], s[10:11]
	s_add_nc_u64 s[18:19], s[18:19], 8
	s_add_nc_u64 s[22:23], s[22:23], 8
	v_add3_u32 v4, v11, v14, v4
	v_sub_co_u32 v5, vcc_lo, v5, v10
	s_wait_alu 0xfffd
	s_delay_alu instid0(VALU_DEP_2) | instskip(SKIP_2) | instid1(VALU_DEP_1)
	v_sub_co_ci_u32_e32 v4, vcc_lo, v6, v4, vcc_lo
	s_and_b32 vcc_lo, exec_lo, s2
	s_wait_kmcnt 0x0
	v_mul_lo_u32 v6, s26, v4
	v_mul_lo_u32 v10, s27, v5
	v_mad_co_u64_u32 v[1:2], null, s26, v5, v[1:2]
	v_mul_lo_u32 v4, s24, v4
	v_mul_lo_u32 v11, s25, v5
	v_mad_co_u64_u32 v[8:9], null, s24, v5, v[8:9]
	s_delay_alu instid0(VALU_DEP_4) | instskip(NEXT) | instid1(VALU_DEP_2)
	v_add3_u32 v2, v10, v2, v6
	v_add3_u32 v9, v11, v9, v4
	s_wait_alu 0xfffe
	s_cbranch_vccnz .LBB0_9
; %bb.7:                                ;   in Loop: Header=BB0_2 Depth=1
	v_dual_mov_b32 v5, v12 :: v_dual_mov_b32 v6, v13
	s_branch .LBB0_2
.LBB0_8:
	v_dual_mov_b32 v9, v2 :: v_dual_mov_b32 v8, v1
	v_dual_mov_b32 v13, v6 :: v_dual_mov_b32 v12, v5
.LBB0_9:
	s_load_b64 s[0:1], s[0:1], 0x28
	v_and_b32_e32 v10, 15, v0
	s_lshl_b64 s[10:11], s[10:11], 3
                                        ; implicit-def: $vgpr14
                                        ; implicit-def: $vgpr24
                                        ; implicit-def: $vgpr22
                                        ; implicit-def: $vgpr18
                                        ; implicit-def: $vgpr20
                                        ; implicit-def: $vgpr16
	s_wait_kmcnt 0x0
	v_cmp_gt_u64_e32 vcc_lo, s[0:1], v[12:13]
	v_cmp_le_u64_e64 s0, s[0:1], v[12:13]
	s_delay_alu instid0(VALU_DEP_1)
	s_and_saveexec_b32 s1, s0
	s_wait_alu 0xfffe
	s_xor_b32 s0, exec_lo, s1
	s_cbranch_execz .LBB0_11
; %bb.10:
	v_dual_mov_b32 v11, 0 :: v_dual_and_b32 v10, 15, v0
                                        ; implicit-def: $vgpr1_vgpr2
	s_delay_alu instid0(VALU_DEP_1)
	v_or_b32_e32 v14, 16, v10
	v_or_b32_e32 v24, 32, v10
	;; [unrolled: 1-line block ×6, first 2 shown]
	v_mov_b32_e32 v15, v11
	v_mov_b32_e32 v25, v11
	;; [unrolled: 1-line block ×6, first 2 shown]
.LBB0_11:
	s_wait_alu 0xfffe
	s_or_saveexec_b32 s1, s0
	v_mul_u32_u24_e32 v0, 0xe1, v7
	s_add_nc_u64 s[2:3], s[14:15], s[10:11]
	s_delay_alu instid0(VALU_DEP_1)
	v_lshlrev_b32_e32 v30, 4, v0
	s_wait_alu 0xfffe
	s_xor_b32 exec_lo, exec_lo, s1
	s_cbranch_execz .LBB0_13
; %bb.12:
	s_add_nc_u64 s[10:11], s[12:13], s[10:11]
	v_lshlrev_b32_e32 v17, 4, v10
	s_load_b64 s[10:11], s[10:11], 0x0
	v_mov_b32_e32 v11, 0
	v_or_b32_e32 v24, 32, v10
	v_or_b32_e32 v22, 48, v10
	v_or_b32_e32 v18, 64, v10
	v_or_b32_e32 v20, 0x50, v10
	v_or_b32_e32 v16, 0x60, v10
	v_add3_u32 v75, 0, v30, v17
	v_mov_b32_e32 v25, v11
	v_mov_b32_e32 v23, v11
	;; [unrolled: 1-line block ×4, first 2 shown]
	s_wait_kmcnt 0x0
	v_mul_lo_u32 v0, s11, v12
	v_mul_lo_u32 v5, s10, v13
	v_mad_co_u64_u32 v[3:4], null, s10, v12, 0
	s_delay_alu instid0(VALU_DEP_1) | instskip(SKIP_1) | instid1(VALU_DEP_2)
	v_add3_u32 v4, v4, v5, v0
	v_lshlrev_b64_e32 v[0:1], 4, v[1:2]
	v_lshlrev_b64_e32 v[3:4], 4, v[3:4]
	s_delay_alu instid0(VALU_DEP_1) | instskip(SKIP_1) | instid1(VALU_DEP_2)
	v_add_co_u32 v2, s0, s4, v3
	s_wait_alu 0xf1ff
	v_add_co_ci_u32_e64 v3, s0, s5, v4, s0
	s_delay_alu instid0(VALU_DEP_2) | instskip(SKIP_1) | instid1(VALU_DEP_2)
	v_add_co_u32 v0, s0, v2, v0
	s_wait_alu 0xf1ff
	v_add_co_ci_u32_e64 v1, s0, v3, v1, s0
	s_delay_alu instid0(VALU_DEP_2) | instskip(SKIP_1) | instid1(VALU_DEP_2)
	v_add_co_u32 v14, s0, v0, v17
	s_wait_alu 0xf1ff
	v_add_co_ci_u32_e64 v15, s0, 0, v1, s0
	v_mov_b32_e32 v17, v11
	s_clause 0xd
	global_load_b128 v[0:3], v[14:15], off
	global_load_b128 v[4:7], v[14:15], off offset:256
	global_load_b128 v[26:29], v[14:15], off offset:512
	;; [unrolled: 1-line block ×13, first 2 shown]
	v_or_b32_e32 v14, 16, v10
	v_mov_b32_e32 v15, v11
	s_wait_loadcnt 0xd
	ds_store_b128 v75, v[0:3]
	s_wait_loadcnt 0xc
	ds_store_b128 v75, v[4:7] offset:256
	s_wait_loadcnt 0xb
	ds_store_b128 v75, v[26:29] offset:512
	;; [unrolled: 2-line block ×13, first 2 shown]
.LBB0_13:
	s_or_b32 exec_lo, exec_lo, s1
	v_lshlrev_b32_e32 v28, 4, v10
	s_load_b64 s[2:3], s[2:3], 0x0
	global_wb scope:SCOPE_SE
	s_wait_dscnt 0x0
	s_wait_kmcnt 0x0
	s_barrier_signal -1
	s_barrier_wait -1
	v_add3_u32 v29, 0, v28, v30
	global_inv scope:SCOPE_SE
	s_mov_b32 s10, 0x37e14327
	s_mov_b32 s0, 0x36b3c0b5
	;; [unrolled: 1-line block ×3, first 2 shown]
	ds_load_b128 v[0:3], v29 offset:3072
	ds_load_b128 v[4:7], v29 offset:512
	;; [unrolled: 1-line block ×12, first 2 shown]
	s_mov_b32 s11, 0x3fe948f6
	s_mov_b32 s1, 0x3fac98ee
	;; [unrolled: 1-line block ×11, first 2 shown]
	s_wait_dscnt 0xa
	v_add_f64_e32 v[26:27], v[4:5], v[0:1]
	v_add_f64_e32 v[71:72], v[6:7], v[2:3]
	s_wait_dscnt 0x8
	v_add_f64_e32 v[73:74], v[31:32], v[35:36]
	v_add_f64_e32 v[75:76], v[33:34], v[37:38]
	;; [unrolled: 3-line block ×4, first 2 shown]
	s_wait_dscnt 0x2
	v_add_f64_e32 v[85:86], v[59:60], v[55:56]
	v_add_f64_e64 v[35:36], v[31:32], -v[35:36]
	v_add_f64_e32 v[87:88], v[61:62], v[57:58]
	v_add_f64_e64 v[37:38], v[33:34], -v[37:38]
	v_add_f64_e64 v[55:56], v[55:56], -v[59:60]
	;; [unrolled: 1-line block ×5, first 2 shown]
	s_wait_dscnt 0x0
	v_add_f64_e32 v[2:3], v[63:64], v[67:68]
	v_add_f64_e32 v[6:7], v[65:66], v[69:70]
	v_add_f64_e64 v[47:48], v[47:48], -v[51:52]
	v_add_f64_e64 v[49:50], v[49:50], -v[53:54]
	;; [unrolled: 1-line block ×6, first 2 shown]
	v_add_nc_u32_e32 v32, 0, v30
	v_and_b32_e32 v31, 0xff, v18
	s_delay_alu instid0(VALU_DEP_2)
	v_add_nc_u32_e32 v33, v32, v28
	v_mad_i32_i24 v130, 0x70, v14, v32
	v_add_f64_e32 v[0:1], v[73:74], v[26:27]
	v_add_f64_e32 v[4:5], v[75:76], v[71:72]
	;; [unrolled: 1-line block ×4, first 2 shown]
	v_add_f64_e64 v[43:44], v[26:27], -v[85:86]
	v_add_f64_e64 v[45:46], v[85:86], -v[73:74]
	;; [unrolled: 1-line block ×19, first 2 shown]
	v_add_f64_e32 v[34:35], v[55:56], v[35:36]
	v_add_f64_e64 v[55:56], v[59:60], -v[55:56]
	v_add_f64_e32 v[36:37], v[57:58], v[37:38]
	v_add_f64_e64 v[57:58], v[61:62], -v[57:58]
	v_add_f64_e32 v[49:50], v[53:54], v[49:50]
	v_add_f64_e32 v[47:48], v[51:52], v[47:48]
	v_add_f64_e64 v[51:52], v[39:40], -v[51:52]
	v_add_f64_e64 v[53:54], v[41:42], -v[53:54]
	;; [unrolled: 1-line block ×3, first 2 shown]
	v_and_b32_e32 v38, 0xff, v10
	v_add_f64_e32 v[85:86], v[85:86], v[0:1]
	v_add_f64_e32 v[87:88], v[87:88], v[4:5]
	s_delay_alu instid0(VALU_DEP_3)
	v_mul_lo_u16 v38, v38, 37
	v_add_f64_e32 v[63:64], v[2:3], v[63:64]
	v_add_f64_e32 v[65:66], v[6:7], v[65:66]
	ds_load_b128 v[0:3], v33
	ds_load_b128 v[4:7], v29 offset:256
	s_wait_alu 0xfffe
	v_mul_f64_e32 v[43:44], s[10:11], v[43:44]
	v_mul_f64_e32 v[75:76], s[0:1], v[45:46]
	;; [unrolled: 1-line block ×16, first 2 shown]
	s_mov_b32 s12, 0x5476071b
	s_mov_b32 s13, 0x3fe77f67
	;; [unrolled: 1-line block ×3, first 2 shown]
	s_wait_alu 0xfffe
	s_mov_b32 s10, s12
	v_add_f64_e32 v[34:35], v[34:35], v[59:60]
	v_add_f64_e32 v[36:37], v[36:37], v[61:62]
	;; [unrolled: 1-line block ×4, first 2 shown]
	v_and_b32_e32 v40, 0xff, v14
	v_lshrrev_b16 v38, 8, v38
	v_and_b32_e32 v41, 0xff, v24
	v_and_b32_e32 v39, 0xff, v16
	global_wb scope:SCOPE_SE
	s_wait_dscnt 0x0
	s_barrier_signal -1
	v_add_f64_e32 v[0:1], v[0:1], v[85:86]
	v_add_f64_e32 v[2:3], v[2:3], v[87:88]
	s_barrier_wait -1
	global_inv scope:SCOPE_SE
	v_add_f64_e32 v[4:5], v[4:5], v[63:64]
	v_add_f64_e32 v[6:7], v[6:7], v[65:66]
	v_fma_f64 v[45:46], v[45:46], s[0:1], v[43:44]
	v_fma_f64 v[59:60], v[26:27], s[12:13], -v[75:76]
	v_fma_f64 v[61:62], v[69:70], s[0:1], v[67:68]
	v_fma_f64 v[69:70], v[71:72], s[12:13], -v[77:78]
	;; [unrolled: 2-line block ×3, first 2 shown]
	v_fma_f64 v[81:82], v[57:58], s[16:17], v[89:90]
	s_wait_alu 0xfffe
	v_fma_f64 v[42:43], v[26:27], s[10:11], -v[43:44]
	v_fma_f64 v[67:68], v[71:72], s[10:11], -v[67:68]
	;; [unrolled: 1-line block ×5, first 2 shown]
	v_fma_f64 v[71:72], v[99:100], s[0:1], v[97:98]
	v_fma_f64 v[93:94], v[107:108], s[0:1], v[101:102]
	;; [unrolled: 1-line block ×4, first 2 shown]
	v_fma_f64 v[103:104], v[109:110], s[4:5], -v[103:104]
	v_fma_f64 v[91:92], v[73:74], s[12:13], -v[115:116]
	;; [unrolled: 1-line block ×8, first 2 shown]
	s_mov_b32 s0, 0x37c3f68c
	s_mov_b32 s1, 0xbfdc38aa
	v_mul_lo_u16 v44, v40, 37
	v_and_b32_e32 v27, 0xff, v22
	v_mul_lo_u16 v114, v41, 37
	v_and_b32_e32 v26, 0xff, v20
	v_fma_f64 v[85:86], v[85:86], s[18:19], v[0:1]
	v_fma_f64 v[87:88], v[87:88], s[18:19], v[2:3]
	v_lshrrev_b16 v44, 8, v44
	v_lshrrev_b16 v114, 8, v114
	v_fma_f64 v[63:64], v[63:64], s[18:19], v[4:5]
	v_fma_f64 v[65:66], v[65:66], s[18:19], v[6:7]
	v_mul_lo_u16 v115, v31, 37
	v_mul_lo_u16 v116, v26, 37
	;; [unrolled: 1-line block ×3, first 2 shown]
	v_mad_u32_u24 v113, 0x70, v10, v32
	s_wait_alu 0xfffe
	v_fma_f64 v[75:76], v[34:35], s[0:1], v[75:76]
	v_fma_f64 v[77:78], v[34:35], s[0:1], v[77:78]
	;; [unrolled: 1-line block ×5, first 2 shown]
	v_sub_nc_u16 v36, v14, v44
	s_delay_alu instid0(VALU_DEP_1) | instskip(SKIP_1) | instid1(VALU_DEP_2)
	v_lshrrev_b16 v36, 1, v36
	v_fma_f64 v[107:108], v[49:50], s[0:1], v[53:54]
	v_and_b32_e32 v119, 0x7f, v36
	v_add_f64_e32 v[97:98], v[45:46], v[85:86]
	v_add_f64_e32 v[101:102], v[61:62], v[87:88]
	;; [unrolled: 1-line block ×3, first 2 shown]
	v_fma_f64 v[69:70], v[34:35], s[0:1], v[55:56]
	v_add_f64_e32 v[42:43], v[42:43], v[85:86]
	v_add_f64_e32 v[67:68], v[67:68], v[87:88]
	;; [unrolled: 1-line block ×3, first 2 shown]
	v_fma_f64 v[87:88], v[47:48], s[0:1], v[95:96]
	v_fma_f64 v[85:86], v[49:50], s[0:1], v[99:100]
	;; [unrolled: 1-line block ×3, first 2 shown]
	v_add_f64_e32 v[103:104], v[71:72], v[63:64]
	v_add_f64_e32 v[93:94], v[93:94], v[65:66]
	v_fma_f64 v[99:100], v[49:50], s[0:1], v[105:106]
	v_fma_f64 v[105:106], v[47:48], s[0:1], v[51:52]
	v_add_f64_e32 v[109:110], v[73:74], v[63:64]
	v_add_f64_e32 v[111:112], v[79:80], v[65:66]
	v_add_f64_e32 v[91:92], v[91:92], v[63:64]
	v_add_f64_e32 v[83:84], v[83:84], v[65:66]
	v_sub_nc_u16 v35, v10, v38
	v_mul_lo_u16 v34, v27, 37
	v_cmp_gt_u32_e64 s0, 14, v10
	s_delay_alu instid0(VALU_DEP_3) | instskip(NEXT) | instid1(VALU_DEP_3)
	v_lshrrev_b16 v35, 1, v35
	v_lshrrev_b16 v118, 8, v34
	s_delay_alu instid0(VALU_DEP_2) | instskip(NEXT) | instid1(VALU_DEP_1)
	v_and_b32_e32 v35, 0x7f, v35
	v_add_nc_u16 v38, v35, v38
	v_add_f64_e32 v[34:35], v[97:98], v[81:82]
	v_add_f64_e64 v[36:37], v[101:102], -v[75:76]
	v_add_f64_e32 v[47:48], v[77:78], v[61:62]
	v_add_f64_e64 v[51:52], v[61:62], -v[77:78]
	v_add_f64_e32 v[53:54], v[42:43], v[57:58]
	v_add_f64_e64 v[55:56], v[67:68], -v[69:70]
	v_add_f64_e64 v[45:46], v[59:60], -v[89:90]
	v_add_f64_e32 v[49:50], v[59:60], v[89:90]
	v_add_f64_e64 v[57:58], v[42:43], -v[57:58]
	v_add_f64_e32 v[59:60], v[69:70], v[67:68]
	;; [unrolled: 2-line block ×3, first 2 shown]
	v_add_f64_e32 v[65:66], v[103:104], v[85:86]
	v_add_f64_e64 v[67:68], v[93:94], -v[87:88]
	v_add_f64_e32 v[77:78], v[109:110], v[107:108]
	v_add_f64_e64 v[79:80], v[111:112], -v[105:106]
	v_add_f64_e64 v[69:70], v[91:92], -v[99:100]
	v_add_f64_e32 v[71:72], v[95:96], v[83:84]
	v_add_f64_e32 v[73:74], v[91:92], v[99:100]
	v_add_f64_e64 v[75:76], v[83:84], -v[95:96]
	v_add_f64_e64 v[81:82], v[109:110], -v[107:108]
	v_add_f64_e32 v[83:84], v[105:106], v[111:112]
	v_add_f64_e64 v[85:86], v[103:104], -v[85:86]
	v_add_f64_e32 v[87:88], v[87:88], v[93:94]
	v_add_nc_u16 v43, v119, v44
	v_lshrrev_b16 v42, 2, v38
	v_sub_nc_u16 v44, v24, v114
	v_lshrrev_b16 v89, 8, v115
	v_lshrrev_b16 v90, 8, v116
	;; [unrolled: 1-line block ×3, first 2 shown]
	v_mul_lo_u16 v92, v42, 7
	v_lshrrev_b16 v44, 1, v44
	v_sub_nc_u16 v91, v22, v118
	v_lshrrev_b16 v38, 8, v117
	v_mul_lo_u16 v96, v43, 7
	v_sub_nc_u16 v92, v10, v92
	v_sub_nc_u16 v93, v18, v89
	v_and_b32_e32 v97, 0x7f, v44
	v_sub_nc_u16 v94, v20, v90
	v_sub_nc_u16 v96, v14, v96
	v_and_b32_e32 v92, 0xff, v92
	v_lshrrev_b16 v91, 1, v91
	v_sub_nc_u16 v95, v16, v38
	v_lshrrev_b16 v93, 1, v93
	v_and_b32_e32 v96, 0xff, v96
	v_lshlrev_b32_e32 v44, 4, v92
	ds_store_b128 v113, v[0:3]
	ds_store_b128 v113, v[34:37] offset:16
	ds_store_b128 v113, v[53:56] offset:32
	;; [unrolled: 1-line block ×6, first 2 shown]
	ds_store_b128 v130, v[4:7]
	ds_store_b128 v130, v[65:68] offset:16
	ds_store_b128 v130, v[77:80] offset:32
	;; [unrolled: 1-line block ×6, first 2 shown]
	v_lshlrev_b32_e32 v45, 4, v96
	global_wb scope:SCOPE_SE
	s_wait_dscnt 0x0
	s_barrier_signal -1
	s_barrier_wait -1
	global_inv scope:SCOPE_SE
	s_clause 0x1
	global_load_b128 v[4:7], v44, s[8:9]
	global_load_b128 v[34:37], v45, s[8:9]
	v_lshrrev_b16 v94, 1, v94
	v_and_b32_e32 v91, 0x7f, v91
	v_lshrrev_b16 v0, 1, v95
	v_and_b32_e32 v1, 0x7f, v93
	v_add_nc_u16 v2, v97, v114
	v_and_b32_e32 v48, 0x7f, v94
	v_add_nc_u16 v3, v91, v118
	;; [unrolled: 2-line block ×3, first 2 shown]
	v_lshrrev_b16 v46, 2, v2
	v_add_nc_u16 v2, v48, v90
	v_lshrrev_b16 v47, 2, v3
	v_add_nc_u16 v0, v0, v38
	v_lshrrev_b16 v48, 2, v1
	v_mul_lo_u16 v3, v46, 7
	v_lshrrev_b16 v49, 2, v2
	v_mul_lo_u16 v1, v47, 7
	;; [unrolled: 2-line block ×3, first 2 shown]
	v_sub_nc_u16 v0, v24, v3
	v_mul_lo_u16 v3, v49, 7
	v_sub_nc_u16 v1, v22, v1
	v_mul_lo_u16 v38, v50, 7
	v_sub_nc_u16 v2, v18, v2
	v_and_b32_e32 v0, 0xff, v0
	v_sub_nc_u16 v3, v20, v3
	v_and_b32_e32 v1, 0xff, v1
	;; [unrolled: 2-line block ×3, first 2 shown]
	v_lshlrev_b32_e32 v51, 4, v0
	v_and_b32_e32 v0, 0xff, v2
	v_lshlrev_b32_e32 v52, 4, v1
	v_and_b32_e32 v1, 0xff, v3
	v_and_b32_e32 v2, 0xff, v38
	global_load_b128 v[56:59], v51, s[8:9]
	v_lshlrev_b32_e32 v53, 4, v0
	global_load_b128 v[60:63], v52, s[8:9]
	v_lshlrev_b32_e32 v54, 4, v1
	v_lshlrev_b32_e32 v55, 4, v2
	v_lshl_add_u32 v38, v24, 4, v32
	s_clause 0x2
	global_load_b128 v[64:67], v53, s[8:9]
	global_load_b128 v[68:71], v54, s[8:9]
	;; [unrolled: 1-line block ×3, first 2 shown]
	ds_load_b128 v[76:79], v29 offset:1792
	ds_load_b128 v[80:83], v29 offset:2048
	ds_load_b128 v[0:3], v33
	ds_load_b128 v[84:87], v29 offset:2304
	ds_load_b128 v[88:91], v29 offset:2560
	ds_load_b128 v[92:95], v29 offset:2816
	ds_load_b128 v[96:99], v29 offset:3072
	ds_load_b128 v[100:103], v29 offset:3328
	v_and_b32_e32 v43, 0xffff, v43
	v_and_b32_e32 v46, 0xffff, v46
	;; [unrolled: 1-line block ×6, first 2 shown]
	v_mad_u32_u24 v42, 0xe0, v42, 0
	v_mad_u32_u24 v43, 0xe0, v43, 0
	;; [unrolled: 1-line block ×7, first 2 shown]
	v_add3_u32 v42, v42, v44, v30
	v_add3_u32 v43, v43, v45, v30
	;; [unrolled: 1-line block ×7, first 2 shown]
	s_wait_loadcnt_dscnt 0x607
	v_mul_f64_e32 v[104:105], v[78:79], v[6:7]
	v_mul_f64_e32 v[6:7], v[76:77], v[6:7]
	s_wait_loadcnt_dscnt 0x506
	v_mul_f64_e32 v[106:107], v[82:83], v[36:37]
	v_mul_f64_e32 v[36:37], v[80:81], v[36:37]
	;; [unrolled: 3-line block ×4, first 2 shown]
	v_fma_f64 v[104:105], v[76:77], v[4:5], v[104:105]
	v_fma_f64 v[4:5], v[78:79], v[4:5], -v[6:7]
	s_wait_loadcnt_dscnt 0x202
	v_mul_f64_e32 v[6:7], v[94:95], v[66:67]
	v_mul_f64_e32 v[66:67], v[92:93], v[66:67]
	s_wait_loadcnt_dscnt 0x101
	v_mul_f64_e32 v[76:77], v[98:99], v[70:71]
	v_mul_f64_e32 v[70:71], v[96:97], v[70:71]
	v_fma_f64 v[106:107], v[80:81], v[34:35], v[106:107]
	v_fma_f64 v[112:113], v[82:83], v[34:35], -v[36:37]
	s_wait_loadcnt_dscnt 0x0
	v_mul_f64_e32 v[34:35], v[102:103], v[74:75]
	v_mul_f64_e32 v[36:37], v[100:101], v[74:75]
	v_fma_f64 v[108:109], v[84:85], v[56:57], v[108:109]
	v_fma_f64 v[114:115], v[86:87], v[56:57], -v[58:59]
	v_fma_f64 v[110:111], v[88:89], v[60:61], v[110:111]
	v_fma_f64 v[116:117], v[90:91], v[60:61], -v[62:63]
	ds_load_b128 v[60:63], v38
	v_add_f64_e64 v[80:81], v[0:1], -v[104:105]
	v_fma_f64 v[118:119], v[92:93], v[64:65], v[6:7]
	v_fma_f64 v[120:121], v[94:95], v[64:65], -v[66:67]
	v_fma_f64 v[122:123], v[96:97], v[68:69], v[76:77]
	v_fma_f64 v[124:125], v[98:99], v[68:69], -v[70:71]
	v_mad_i32_i24 v6, 0xffffffa0, v14, v130
	v_add_f64_e64 v[82:83], v[2:3], -v[4:5]
	v_fma_f64 v[126:127], v[100:101], v[72:73], v[34:35]
	v_fma_f64 v[128:129], v[102:103], v[72:73], -v[36:37]
	v_lshl_add_u32 v37, v22, 4, v32
	ds_load_b128 v[56:59], v6
	v_lshl_add_u32 v36, v18, 4, v32
	v_lshl_add_u32 v35, v20, 4, v32
	;; [unrolled: 1-line block ×3, first 2 shown]
	ds_load_b128 v[64:67], v37
	ds_load_b128 v[68:71], v36
	;; [unrolled: 1-line block ×4, first 2 shown]
	v_lshrrev_b16 v7, 1, v40
	v_dual_mov_b32 v5, 0 :: v_dual_add_nc_u32 v40, -14, v10
	global_wb scope:SCOPE_SE
	s_wait_dscnt 0x0
	s_barrier_signal -1
	v_mul_lo_u16 v4, 0x93, v7
	s_barrier_wait -1
	global_inv scope:SCOPE_SE
	v_lshrrev_b16 v7, 10, v4
	s_wait_alu 0xf1ff
	v_cndmask_b32_e64 v4, v40, v10, s0
	v_add_f64_e64 v[84:85], v[56:57], -v[106:107]
	v_add_f64_e64 v[86:87], v[58:59], -v[112:113]
	v_mul_lo_u16 v40, v7, 14
	v_add_f64_e64 v[88:89], v[60:61], -v[108:109]
	v_add_f64_e64 v[90:91], v[62:63], -v[114:115]
	v_add_f64_e64 v[92:93], v[64:65], -v[110:111]
	v_add_f64_e64 v[94:95], v[66:67], -v[116:117]
	v_lshlrev_b64_e32 v[108:109], 4, v[4:5]
	v_fma_f64 v[0:1], v[0:1], 2.0, -v[80:81]
	v_add_f64_e64 v[96:97], v[68:69], -v[118:119]
	v_add_f64_e64 v[98:99], v[70:71], -v[120:121]
	;; [unrolled: 1-line block ×4, first 2 shown]
	v_sub_nc_u16 v111, v14, v40
	v_fma_f64 v[2:3], v[2:3], 2.0, -v[82:83]
	v_add_f64_e64 v[104:105], v[76:77], -v[126:127]
	v_add_f64_e64 v[106:107], v[78:79], -v[128:129]
	v_add_co_u32 v40, s0, s8, v108
	v_lshrrev_b16 v110, 1, v41
	s_wait_alu 0xf1ff
	v_add_co_ci_u32_e64 v41, s0, s9, v109, s0
	v_and_b32_e32 v108, 0xff, v111
	v_cmp_lt_u32_e64 s0, 13, v10
	v_lshlrev_b32_e32 v4, 4, v4
	v_fma_f64 v[56:57], v[56:57], 2.0, -v[84:85]
	v_fma_f64 v[58:59], v[58:59], 2.0, -v[86:87]
	;; [unrolled: 1-line block ×12, first 2 shown]
	ds_store_b128 v42, v[80:83] offset:112
	ds_store_b128 v42, v[0:3]
	ds_store_b128 v43, v[56:59]
	ds_store_b128 v43, v[84:87] offset:112
	ds_store_b128 v44, v[60:63]
	ds_store_b128 v44, v[88:91] offset:112
	ds_store_b128 v45, v[64:67]
	ds_store_b128 v45, v[92:95] offset:112
	ds_store_b128 v46, v[68:71]
	ds_store_b128 v46, v[96:99] offset:112
	ds_store_b128 v47, v[72:75]
	ds_store_b128 v47, v[100:103] offset:112
	ds_store_b128 v48, v[76:79]
	ds_store_b128 v48, v[104:107] offset:112
	global_wb scope:SCOPE_SE
	s_wait_dscnt 0x0
	s_barrier_signal -1
	s_barrier_wait -1
	global_inv scope:SCOPE_SE
	global_load_b128 v[51:54], v[40:41], off offset:112
	v_lshlrev_b32_e32 v40, 4, v108
	v_lshrrev_b16 v0, 1, v27
	v_mul_lo_u16 v1, 0x93, v110
	v_lshrrev_b16 v2, 1, v31
	v_lshrrev_b16 v3, 1, v26
	global_load_b128 v[55:58], v40, s[8:9] offset:112
	v_mul_lo_u16 v0, 0x93, v0
	v_lshrrev_b16 v41, 10, v1
	v_mul_lo_u16 v1, 0x93, v2
	v_lshrrev_b16 v2, 1, v39
	;; [unrolled: 2-line block ×5, first 2 shown]
	v_mul_lo_u16 v2, v42, 14
	v_sub_nc_u16 v0, v24, v0
	v_mul_lo_u16 v3, v43, 14
	v_lshrrev_b16 v46, 10, v1
	v_mul_lo_u16 v1, v44, 14
	v_sub_nc_u16 v2, v22, v2
	v_and_b32_e32 v0, 0xff, v0
	v_sub_nc_u16 v3, v18, v3
	v_mul_lo_u16 v47, v46, 14
	v_sub_nc_u16 v1, v20, v1
	v_and_b32_e32 v2, 0xff, v2
	v_lshlrev_b32_e32 v45, 4, v0
	v_and_b32_e32 v0, 0xff, v3
	v_sub_nc_u16 v3, v16, v47
	v_and_b32_e32 v1, 0xff, v1
	v_lshlrev_b32_e32 v47, 4, v2
	global_load_b128 v[59:62], v45, s[8:9] offset:112
	v_lshlrev_b32_e32 v48, 4, v0
	v_and_b32_e32 v0, 0xff, v3
	v_lshlrev_b32_e32 v49, 4, v1
	global_load_b128 v[63:66], v47, s[8:9] offset:112
	v_lshrrev_b16 v27, 2, v27
	global_load_b128 v[67:70], v48, s[8:9] offset:112
	v_lshlrev_b32_e32 v50, 4, v0
	s_clause 0x1
	global_load_b128 v[71:74], v49, s[8:9] offset:112
	global_load_b128 v[75:78], v50, s[8:9] offset:112
	ds_load_b128 v[79:82], v29 offset:1792
	ds_load_b128 v[83:86], v29 offset:2048
	ds_load_b128 v[0:3], v33
	ds_load_b128 v[87:90], v29 offset:2304
	ds_load_b128 v[91:94], v29 offset:2560
	ds_load_b128 v[95:98], v29 offset:2816
	ds_load_b128 v[99:102], v29 offset:3072
	ds_load_b128 v[103:106], v29 offset:3328
	v_lshrrev_b16 v31, 2, v31
	v_lshrrev_b16 v26, 2, v26
	v_lshlrev_b64_e32 v[24:25], 4, v[24:25]
	s_wait_loadcnt_dscnt 0x607
	v_mul_f64_e32 v[107:108], v[81:82], v[53:54]
	v_mul_f64_e32 v[53:54], v[79:80], v[53:54]
	s_wait_loadcnt_dscnt 0x506
	v_mul_f64_e32 v[109:110], v[85:86], v[57:58]
	v_mul_f64_e32 v[57:58], v[83:84], v[57:58]
	;; [unrolled: 3-line block ×3, first 2 shown]
	v_fma_f64 v[79:80], v[79:80], v[51:52], v[107:108]
	v_fma_f64 v[81:82], v[81:82], v[51:52], -v[53:54]
	s_wait_loadcnt_dscnt 0x303
	v_mul_f64_e32 v[51:52], v[93:94], v[65:66]
	v_mul_f64_e32 v[53:54], v[91:92], v[65:66]
	s_wait_loadcnt_dscnt 0x202
	v_mul_f64_e32 v[65:66], v[97:98], v[69:70]
	v_mul_f64_e32 v[69:70], v[95:96], v[69:70]
	v_fma_f64 v[83:84], v[83:84], v[55:56], v[109:110]
	v_fma_f64 v[85:86], v[85:86], v[55:56], -v[57:58]
	s_wait_loadcnt_dscnt 0x101
	v_mul_f64_e32 v[55:56], v[101:102], v[73:74]
	v_mul_f64_e32 v[57:58], v[99:100], v[73:74]
	s_wait_loadcnt_dscnt 0x0
	v_mul_f64_e32 v[73:74], v[105:106], v[77:78]
	v_mul_f64_e32 v[77:78], v[103:104], v[77:78]
	v_lshlrev_b64_e32 v[107:108], 4, v[10:11]
	v_lshrrev_b16 v109, 2, v39
	v_and_b32_e32 v39, 0xffff, v44
	s_delay_alu instid0(VALU_DEP_1) | instskip(NEXT) | instid1(VALU_DEP_1)
	v_mad_u32_u24 v39, 0x1c0, v39, 0
	v_add3_u32 v39, v39, v49, v30
	v_fma_f64 v[87:88], v[87:88], v[59:60], v[111:112]
	v_fma_f64 v[89:90], v[89:90], v[59:60], -v[61:62]
	v_fma_f64 v[91:92], v[91:92], v[63:64], v[51:52]
	v_fma_f64 v[93:94], v[93:94], v[63:64], -v[53:54]
	;; [unrolled: 2-line block ×5, first 2 shown]
	ds_load_b128 v[51:54], v6
	ds_load_b128 v[55:58], v38
	;; [unrolled: 1-line block ×6, first 2 shown]
	v_add_f64_e64 v[75:76], v[0:1], -v[79:80]
	v_add_f64_e64 v[77:78], v[2:3], -v[81:82]
	global_wb scope:SCOPE_SE
	s_wait_dscnt 0x0
	s_barrier_signal -1
	s_barrier_wait -1
	global_inv scope:SCOPE_SE
	v_add_f64_e64 v[79:80], v[51:52], -v[83:84]
	v_add_f64_e64 v[81:82], v[53:54], -v[85:86]
	;; [unrolled: 1-line block ×12, first 2 shown]
	s_wait_alu 0xf1ff
	v_cndmask_b32_e64 v103, 0, 0x1c0, s0
	v_fma_f64 v[105:106], v[2:3], 2.0, -v[77:78]
	v_add_co_u32 v2, s0, s8, v107
	s_delay_alu instid0(VALU_DEP_3)
	v_add_nc_u32_e32 v11, 0, v103
	v_fma_f64 v[103:104], v[0:1], 2.0, -v[75:76]
	v_mul_lo_u16 v0, v27, 37
	v_and_b32_e32 v27, 0xffff, v43
	s_wait_alu 0xf1ff
	v_add_co_ci_u32_e64 v3, s0, s9, v108, s0
	v_add3_u32 v1, v11, v4, v30
	v_and_b32_e32 v4, 0xffff, v7
	v_and_b32_e32 v7, 0xffff, v41
	;; [unrolled: 1-line block ×3, first 2 shown]
	v_fma_f64 v[51:52], v[51:52], 2.0, -v[79:80]
	v_fma_f64 v[53:54], v[53:54], 2.0, -v[81:82]
	v_and_b32_e32 v11, 0xffff, v42
	v_mad_u32_u24 v4, 0x1c0, v4, 0
	v_mad_u32_u24 v7, 0x1c0, v7, 0
	;; [unrolled: 1-line block ×3, first 2 shown]
	v_fma_f64 v[55:56], v[55:56], 2.0, -v[83:84]
	v_fma_f64 v[57:58], v[57:58], 2.0, -v[85:86]
	v_mad_u32_u24 v11, 0x1c0, v11, 0
	v_mad_u32_u24 v27, 0x1c0, v27, 0
	v_add3_u32 v4, v4, v40, v30
	v_add3_u32 v7, v7, v45, v30
	;; [unrolled: 1-line block ×3, first 2 shown]
	v_fma_f64 v[59:60], v[59:60], 2.0, -v[87:88]
	v_fma_f64 v[61:62], v[61:62], 2.0, -v[89:90]
	;; [unrolled: 1-line block ×4, first 2 shown]
	v_add3_u32 v11, v11, v47, v30
	v_add3_u32 v27, v27, v48, v30
	v_fma_f64 v[67:68], v[67:68], 2.0, -v[95:96]
	v_fma_f64 v[69:70], v[69:70], 2.0, -v[97:98]
	;; [unrolled: 1-line block ×4, first 2 shown]
	ds_store_b128 v1, v[75:78] offset:224
	ds_store_b128 v1, v[103:106]
	ds_store_b128 v4, v[51:54]
	ds_store_b128 v4, v[79:82] offset:224
	ds_store_b128 v7, v[55:58]
	ds_store_b128 v7, v[83:86] offset:224
	;; [unrolled: 2-line block ×6, first 2 shown]
	global_wb scope:SCOPE_SE
	s_wait_dscnt 0x0
	s_barrier_signal -1
	s_barrier_wait -1
	global_inv scope:SCOPE_SE
	global_load_b128 v[39:42], v[2:3], off offset:336
	v_mul_lo_u16 v1, v31, 37
	v_mul_lo_u16 v4, v26, 37
	v_lshrrev_b16 v11, 8, v0
	v_add_nc_u32_e32 v0, -12, v10
	v_cmp_gt_u32_e64 s0, 28, v14
	v_mul_lo_u16 v7, v109, 37
	v_lshrrev_b16 v1, 8, v1
	v_lshrrev_b16 v31, 8, v4
	v_mul_lo_u16 v26, v11, 28
	s_wait_alu 0xf1ff
	v_cndmask_b32_e64 v4, v0, v14, s0
	v_lshrrev_b16 v7, 8, v7
	v_mul_lo_u16 v27, v1, 28
	v_mul_lo_u16 v43, v31, 28
	v_sub_nc_u16 v26, v22, v26
	v_lshlrev_b64_e32 v[0:1], 4, v[4:5]
	v_mul_lo_u16 v7, v7, 28
	v_sub_nc_u16 v27, v18, v27
	v_sub_nc_u16 v43, v20, v43
	v_and_b32_e32 v26, 0xff, v26
	v_lshlrev_b32_e32 v4, 4, v4
	v_add_co_u32 v0, s0, s8, v0
	v_sub_nc_u16 v7, v16, v7
	s_wait_alu 0xf1ff
	v_add_co_ci_u32_e64 v1, s0, s9, v1, s0
	v_and_b32_e32 v27, 0xff, v27
	v_and_b32_e32 v55, 0xff, v43
	v_lshlrev_b32_e32 v105, 4, v26
	global_load_b128 v[43:46], v[0:1], off offset:336
	v_and_b32_e32 v7, 0xff, v7
	v_lshlrev_b32_e32 v106, 4, v27
	s_clause 0x1
	global_load_b128 v[47:50], v[2:3], off offset:400
	global_load_b128 v[51:54], v105, s[8:9] offset:336
	v_lshlrev_b32_e32 v107, 4, v55
	v_cmp_lt_u32_e64 s0, 27, v14
	v_lshlrev_b32_e32 v7, 4, v7
	s_clause 0x2
	global_load_b128 v[55:58], v106, s[8:9] offset:336
	global_load_b128 v[59:62], v107, s[8:9] offset:336
	;; [unrolled: 1-line block ×3, first 2 shown]
	ds_load_b128 v[67:70], v29 offset:1792
	ds_load_b128 v[71:74], v29 offset:2048
	;; [unrolled: 1-line block ×7, first 2 shown]
	ds_load_b128 v[95:98], v6
	v_add_nc_u32_e32 v7, v32, v7
	s_wait_loadcnt_dscnt 0x607
	v_mul_f64_e32 v[0:1], v[69:70], v[41:42]
	v_mul_f64_e32 v[26:27], v[67:68], v[41:42]
	s_wait_loadcnt_dscnt 0x506
	v_mul_f64_e32 v[41:42], v[73:74], v[45:46]
	v_mul_f64_e32 v[45:46], v[71:72], v[45:46]
	;; [unrolled: 3-line block ×5, first 2 shown]
	v_fma_f64 v[0:1], v[67:68], v[39:40], v[0:1]
	v_fma_f64 v[26:27], v[69:70], v[39:40], -v[26:27]
	s_wait_loadcnt_dscnt 0x102
	v_mul_f64_e32 v[39:40], v[89:90], v[61:62]
	v_mul_f64_e32 v[61:62], v[87:88], v[61:62]
	s_wait_loadcnt_dscnt 0x1
	v_mul_f64_e32 v[67:68], v[93:94], v[65:66]
	v_mul_f64_e32 v[65:66], v[91:92], v[65:66]
	v_fma_f64 v[69:70], v[71:72], v[43:44], v[41:42]
	v_fma_f64 v[71:72], v[73:74], v[43:44], -v[45:46]
	v_fma_f64 v[73:74], v[75:76], v[47:48], v[99:100]
	v_fma_f64 v[75:76], v[77:78], v[47:48], -v[49:50]
	;; [unrolled: 2-line block ×6, first 2 shown]
	ds_load_b128 v[39:42], v33
	ds_load_b128 v[43:46], v38
	;; [unrolled: 1-line block ×6, first 2 shown]
	global_wb scope:SCOPE_SE
	s_wait_dscnt 0x0
	s_barrier_signal -1
	s_barrier_wait -1
	global_inv scope:SCOPE_SE
	v_add_f64_e64 v[63:64], v[39:40], -v[0:1]
	v_add_f64_e64 v[65:66], v[41:42], -v[26:27]
	s_wait_alu 0xf1ff
	v_cndmask_b32_e64 v0, 0, 0x380, s0
	v_and_b32_e32 v1, 0xffff, v11
	v_and_b32_e32 v11, 0xffff, v31
	v_cmp_gt_u32_e64 s0, 56, v22
	s_delay_alu instid0(VALU_DEP_4)
	v_add_nc_u32_e32 v0, 0, v0
	v_add_f64_e64 v[67:68], v[95:96], -v[69:70]
	v_add_f64_e64 v[69:70], v[97:98], -v[71:72]
	;; [unrolled: 1-line block ×6, first 2 shown]
	v_mad_u32_u24 v1, 0x380, v1, 0
	v_add_f64_e64 v[79:80], v[51:52], -v[81:82]
	v_add_f64_e64 v[81:82], v[53:54], -v[83:84]
	v_mad_u32_u24 v11, 0x380, v11, 0
	v_add3_u32 v0, v0, v4, v30
	v_add_f64_e64 v[83:84], v[55:56], -v[85:86]
	v_add_f64_e64 v[85:86], v[57:58], -v[87:88]
	;; [unrolled: 1-line block ×4, first 2 shown]
	v_add3_u32 v1, v1, v105, v30
	v_add3_u32 v4, v11, v107, v30
	v_add_nc_u32_e32 v11, v32, v106
	v_fma_f64 v[39:40], v[39:40], 2.0, -v[63:64]
	v_fma_f64 v[41:42], v[41:42], 2.0, -v[65:66]
	;; [unrolled: 1-line block ×14, first 2 shown]
	ds_store_b128 v29, v[63:66] offset:448
	ds_store_b128 v29, v[39:42]
	ds_store_b128 v0, v[91:94]
	ds_store_b128 v0, v[67:70] offset:448
	ds_store_b128 v29, v[43:46] offset:960
	ds_store_b128 v29, v[71:74] offset:1408
	ds_store_b128 v1, v[47:50]
	ds_store_b128 v1, v[75:78] offset:448
	ds_store_b128 v11, v[51:54] offset:1792
	ds_store_b128 v11, v[79:82] offset:2240
	;; [unrolled: 4-line block ×3, first 2 shown]
	global_wb scope:SCOPE_SE
	s_wait_dscnt 0x0
	s_barrier_signal -1
	s_barrier_wait -1
	global_inv scope:SCOPE_SE
	global_load_b128 v[39:42], v[2:3], off offset:784
	v_add_nc_u32_e32 v4, -8, v10
	v_lshlrev_b64_e32 v[0:1], 4, v[14:15]
	v_lshlrev_b64_e32 v[15:16], 4, v[16:17]
	v_sub_nc_u32_e32 v11, v32, v28
	s_wait_alu 0xf1ff
	v_cndmask_b32_e64 v4, v4, v22, s0
	s_delay_alu instid0(VALU_DEP_4) | instskip(SKIP_2) | instid1(VALU_DEP_3)
	v_add_co_u32 v26, s0, s8, v0
	s_wait_alu 0xf1ff
	v_add_co_ci_u32_e64 v27, s0, s9, v1, s0
	v_lshlrev_b64_e32 v[0:1], 4, v[4:5]
	v_add_co_u32 v24, s0, s8, v24
	s_wait_alu 0xf1ff
	v_add_co_ci_u32_e64 v25, s0, s9, v25, s0
	s_delay_alu instid0(VALU_DEP_3)
	v_add_co_u32 v0, s0, s8, v0
	s_wait_alu 0xf1ff
	v_add_co_ci_u32_e64 v1, s0, s9, v1, s0
	s_clause 0x5
	global_load_b128 v[43:46], v[26:27], off offset:784
	global_load_b128 v[47:50], v[24:25], off offset:784
	;; [unrolled: 1-line block ×6, first 2 shown]
	ds_load_b128 v[67:70], v29 offset:1792
	ds_load_b128 v[71:74], v29 offset:2048
	;; [unrolled: 1-line block ×7, first 2 shown]
	ds_load_b128 v[95:98], v6
	v_cmp_lt_u32_e64 s0, 55, v22
	s_wait_alu 0xf1ff
	s_delay_alu instid0(VALU_DEP_1) | instskip(NEXT) | instid1(VALU_DEP_1)
	v_cndmask_b32_e64 v5, 0, 0x700, s0
	v_add_nc_u32_e32 v5, 0, v5
	s_wait_loadcnt_dscnt 0x607
	v_mul_f64_e32 v[0:1], v[69:70], v[41:42]
	v_mul_f64_e32 v[41:42], v[67:68], v[41:42]
	s_wait_loadcnt_dscnt 0x506
	v_mul_f64_e32 v[99:100], v[73:74], v[45:46]
	v_mul_f64_e32 v[45:46], v[71:72], v[45:46]
	;; [unrolled: 3-line block ×6, first 2 shown]
	v_fma_f64 v[0:1], v[67:68], v[39:40], v[0:1]
	v_fma_f64 v[67:68], v[69:70], v[39:40], -v[41:42]
	s_wait_loadcnt_dscnt 0x1
	v_mul_f64_e32 v[39:40], v[93:94], v[65:66]
	v_mul_f64_e32 v[41:42], v[91:92], v[65:66]
	v_fma_f64 v[69:70], v[71:72], v[43:44], v[99:100]
	v_fma_f64 v[71:72], v[73:74], v[43:44], -v[45:46]
	v_fma_f64 v[73:74], v[75:76], v[47:48], v[101:102]
	v_fma_f64 v[75:76], v[77:78], v[47:48], -v[49:50]
	v_fma_f64 v[77:78], v[79:80], v[51:52], v[103:104]
	v_fma_f64 v[79:80], v[81:82], v[51:52], -v[53:54]
	v_fma_f64 v[81:82], v[83:84], v[55:56], v[105:106]
	v_fma_f64 v[83:84], v[85:86], v[55:56], -v[57:58]
	v_fma_f64 v[85:86], v[87:88], v[59:60], v[107:108]
	v_fma_f64 v[87:88], v[89:90], v[59:60], -v[61:62]
	v_fma_f64 v[89:90], v[91:92], v[63:64], v[39:40]
	v_fma_f64 v[91:92], v[93:94], v[63:64], -v[41:42]
	ds_load_b128 v[39:42], v33
	ds_load_b128 v[43:46], v38
	;; [unrolled: 1-line block ×6, first 2 shown]
	global_wb scope:SCOPE_SE
	s_wait_dscnt 0x0
	s_barrier_signal -1
	s_barrier_wait -1
	global_inv scope:SCOPE_SE
	v_add_f64_e64 v[63:64], v[39:40], -v[0:1]
	v_add_f64_e64 v[65:66], v[41:42], -v[67:68]
	;; [unrolled: 1-line block ×12, first 2 shown]
	v_lshlrev_b64_e32 v[0:1], 4, v[22:23]
	v_add_f64_e64 v[87:88], v[59:60], -v[89:90]
	v_add_f64_e64 v[89:90], v[61:62], -v[91:92]
	v_fma_f64 v[39:40], v[39:40], 2.0, -v[63:64]
	v_fma_f64 v[41:42], v[41:42], 2.0, -v[65:66]
	;; [unrolled: 1-line block ×12, first 2 shown]
	v_lshlrev_b64_e32 v[95:96], 4, v[18:19]
	v_lshlrev_b64_e32 v[97:98], 4, v[20:21]
	v_add_co_u32 v21, s0, s8, v0
	s_wait_alu 0xf1ff
	v_add_co_ci_u32_e64 v22, s0, s9, v1, s0
	s_delay_alu instid0(VALU_DEP_4)
	v_add_co_u32 v19, s0, s8, v95
	v_lshlrev_b32_e32 v0, 4, v4
	v_fma_f64 v[59:60], v[59:60], 2.0, -v[87:88]
	v_fma_f64 v[61:62], v[61:62], 2.0, -v[89:90]
	s_wait_alu 0xf1ff
	v_add_co_ci_u32_e64 v20, s0, s9, v96, s0
	v_add_co_u32 v17, s0, s8, v97
	s_wait_alu 0xf1ff
	v_add_co_ci_u32_e64 v18, s0, s9, v98, s0
	v_add3_u32 v0, v5, v0, v30
	ds_store_b128 v29, v[63:66] offset:896
	ds_store_b128 v29, v[39:42]
	ds_store_b128 v6, v[91:94]
	ds_store_b128 v6, v[67:70] offset:896
	ds_store_b128 v38, v[43:46]
	ds_store_b128 v38, v[71:74] offset:896
	;; [unrolled: 2-line block ×3, first 2 shown]
	ds_store_b128 v29, v[51:54] offset:1920
	ds_store_b128 v29, v[55:58] offset:2176
	;; [unrolled: 1-line block ×6, first 2 shown]
	global_wb scope:SCOPE_SE
	s_wait_dscnt 0x0
	s_barrier_signal -1
	s_barrier_wait -1
	global_inv scope:SCOPE_SE
	s_clause 0x3
	global_load_b128 v[39:42], v[2:3], off offset:1680
	global_load_b128 v[43:46], v[26:27], off offset:1680
	;; [unrolled: 1-line block ×4, first 2 shown]
	v_add_co_u32 v15, s0, s8, v15
	s_wait_alu 0xf1ff
	v_add_co_ci_u32_e64 v16, s0, s9, v16, s0
	s_clause 0x2
	global_load_b128 v[55:58], v[19:20], off offset:1680
	global_load_b128 v[59:62], v[17:18], off offset:1680
	;; [unrolled: 1-line block ×3, first 2 shown]
	ds_load_b128 v[67:70], v29 offset:1792
	ds_load_b128 v[71:74], v29 offset:2048
	;; [unrolled: 1-line block ×7, first 2 shown]
	ds_load_b128 v[95:98], v6
	v_cmp_ne_u32_e64 s0, 0, v10
	s_wait_loadcnt_dscnt 0x607
	v_mul_f64_e32 v[0:1], v[69:70], v[41:42]
	v_mul_f64_e32 v[4:5], v[67:68], v[41:42]
	s_wait_loadcnt_dscnt 0x506
	v_mul_f64_e32 v[30:31], v[73:74], v[45:46]
	v_mul_f64_e32 v[41:42], v[71:72], v[45:46]
	;; [unrolled: 3-line block ×7, first 2 shown]
	v_fma_f64 v[0:1], v[67:68], v[39:40], v[0:1]
	v_fma_f64 v[4:5], v[69:70], v[39:40], -v[4:5]
	v_fma_f64 v[30:31], v[71:72], v[43:44], v[30:31]
	v_fma_f64 v[69:70], v[73:74], v[43:44], -v[41:42]
	;; [unrolled: 2-line block ×7, first 2 shown]
	ds_load_b128 v[39:42], v33
	ds_load_b128 v[43:46], v38
	;; [unrolled: 1-line block ×6, first 2 shown]
	global_wb scope:SCOPE_SE
	s_wait_dscnt 0x0
	s_barrier_signal -1
	s_barrier_wait -1
	global_inv scope:SCOPE_SE
	v_add_f64_e64 v[63:64], v[39:40], -v[0:1]
	v_add_f64_e64 v[65:66], v[41:42], -v[4:5]
	;; [unrolled: 1-line block ×14, first 2 shown]
                                        ; implicit-def: $vgpr0_vgpr1
                                        ; implicit-def: $vgpr30_vgpr31
	v_fma_f64 v[39:40], v[39:40], 2.0, -v[63:64]
	v_fma_f64 v[41:42], v[41:42], 2.0, -v[65:66]
	;; [unrolled: 1-line block ×14, first 2 shown]
	ds_store_b128 v29, v[63:66] offset:1792
	ds_store_b128 v29, v[39:42]
	ds_store_b128 v6, v[91:94]
	ds_store_b128 v6, v[67:70] offset:1792
	ds_store_b128 v38, v[43:46]
	ds_store_b128 v38, v[71:74] offset:1792
	;; [unrolled: 2-line block ×6, first 2 shown]
	global_wb scope:SCOPE_SE
	s_wait_dscnt 0x0
	s_barrier_signal -1
	s_barrier_wait -1
	global_inv scope:SCOPE_SE
	ds_load_b128 v[4:7], v33
                                        ; implicit-def: $vgpr28_vgpr29
	s_and_saveexec_b32 s1, s0
	s_wait_alu 0xfffe
	s_xor_b32 s0, exec_lo, s1
	s_cbranch_execz .LBB0_15
; %bb.14:
	global_load_b128 v[39:42], v[2:3], off offset:3472
	ds_load_b128 v[0:3], v11 offset:3584
	s_wait_dscnt 0x0
	v_add_f64_e64 v[28:29], v[4:5], -v[0:1]
	v_add_f64_e32 v[30:31], v[6:7], v[2:3]
	v_add_f64_e64 v[2:3], v[6:7], -v[2:3]
	v_add_f64_e32 v[0:1], v[4:5], v[0:1]
	s_delay_alu instid0(VALU_DEP_4) | instskip(NEXT) | instid1(VALU_DEP_4)
	v_mul_f64_e32 v[6:7], 0.5, v[28:29]
	v_mul_f64_e32 v[4:5], 0.5, v[30:31]
	s_delay_alu instid0(VALU_DEP_4) | instskip(SKIP_1) | instid1(VALU_DEP_3)
	v_mul_f64_e32 v[2:3], 0.5, v[2:3]
	s_wait_loadcnt 0x0
	v_mul_f64_e32 v[28:29], v[6:7], v[41:42]
	s_delay_alu instid0(VALU_DEP_2) | instskip(SKIP_1) | instid1(VALU_DEP_3)
	v_fma_f64 v[30:31], v[4:5], v[41:42], v[2:3]
	v_fma_f64 v[2:3], v[4:5], v[41:42], -v[2:3]
	v_fma_f64 v[43:44], v[0:1], 0.5, v[28:29]
	v_fma_f64 v[0:1], v[0:1], 0.5, -v[28:29]
	s_delay_alu instid0(VALU_DEP_4) | instskip(NEXT) | instid1(VALU_DEP_4)
	v_fma_f64 v[30:31], -v[39:40], v[6:7], v[30:31]
	v_fma_f64 v[2:3], -v[39:40], v[6:7], v[2:3]
	s_delay_alu instid0(VALU_DEP_4) | instskip(NEXT) | instid1(VALU_DEP_4)
	v_fma_f64 v[28:29], v[4:5], v[39:40], v[43:44]
	v_fma_f64 v[0:1], -v[4:5], v[39:40], v[0:1]
                                        ; implicit-def: $vgpr4_vgpr5
.LBB0_15:
	s_wait_alu 0xfffe
	s_and_not1_saveexec_b32 s0, s0
	s_cbranch_execz .LBB0_17
; %bb.16:
	s_wait_dscnt 0x0
	v_add_f64_e32 v[28:29], v[4:5], v[6:7]
	v_add_f64_e64 v[0:1], v[4:5], -v[6:7]
	ds_load_b64 v[4:5], v32 offset:1800
	v_mov_b32_e32 v30, 0
	v_mov_b32_e32 v31, 0
	s_delay_alu instid0(VALU_DEP_1)
	v_dual_mov_b32 v2, v30 :: v_dual_mov_b32 v3, v31
	s_wait_dscnt 0x0
	v_xor_b32_e32 v5, 0x80000000, v5
	ds_store_b64 v32, v[4:5] offset:1800
.LBB0_17:
	s_wait_alu 0xfffe
	s_or_b32 exec_lo, exec_lo, s0
	s_wait_dscnt 0x0
	s_clause 0x1
	global_load_b128 v[4:7], v[26:27], off offset:3472
	global_load_b128 v[23:26], v[24:25], off offset:3472
	v_lshl_add_u32 v14, v14, 4, v32
	ds_store_2addr_b64 v33, v[28:29], v[30:31] offset1:1
	ds_store_b128 v11, v[0:3] offset:3584
	ds_load_b128 v[0:3], v14
	ds_load_b128 v[27:30], v11 offset:3328
	s_wait_dscnt 0x0
	v_add_f64_e64 v[39:40], v[0:1], -v[27:28]
	v_add_f64_e32 v[41:42], v[2:3], v[29:30]
	v_add_f64_e64 v[2:3], v[2:3], -v[29:30]
	v_add_f64_e32 v[0:1], v[0:1], v[27:28]
	s_delay_alu instid0(VALU_DEP_4) | instskip(NEXT) | instid1(VALU_DEP_4)
	v_mul_f64_e32 v[29:30], 0.5, v[39:40]
	v_mul_f64_e32 v[39:40], 0.5, v[41:42]
	s_delay_alu instid0(VALU_DEP_4) | instskip(SKIP_1) | instid1(VALU_DEP_3)
	v_mul_f64_e32 v[2:3], 0.5, v[2:3]
	s_wait_loadcnt 0x1
	v_mul_f64_e32 v[27:28], v[29:30], v[6:7]
	s_delay_alu instid0(VALU_DEP_2) | instskip(SKIP_1) | instid1(VALU_DEP_3)
	v_fma_f64 v[41:42], v[39:40], v[6:7], v[2:3]
	v_fma_f64 v[2:3], v[39:40], v[6:7], -v[2:3]
	v_fma_f64 v[6:7], v[0:1], 0.5, v[27:28]
	v_fma_f64 v[0:1], v[0:1], 0.5, -v[27:28]
	s_delay_alu instid0(VALU_DEP_4) | instskip(NEXT) | instid1(VALU_DEP_4)
	v_fma_f64 v[27:28], -v[4:5], v[29:30], v[41:42]
	v_fma_f64 v[2:3], -v[4:5], v[29:30], v[2:3]
	s_delay_alu instid0(VALU_DEP_4) | instskip(NEXT) | instid1(VALU_DEP_4)
	v_fma_f64 v[29:30], v[39:40], v[4:5], v[6:7]
	v_fma_f64 v[0:1], -v[39:40], v[4:5], v[0:1]
	global_load_b128 v[4:7], v[21:22], off offset:3472
	ds_store_2addr_b64 v14, v[29:30], v[27:28] offset1:1
	ds_store_b128 v11, v[0:3] offset:3328
	ds_load_b128 v[0:3], v38
	ds_load_b128 v[27:30], v11 offset:3072
	s_wait_dscnt 0x0
	v_add_f64_e64 v[21:22], v[0:1], -v[27:28]
	v_add_f64_e32 v[39:40], v[2:3], v[29:30]
	v_add_f64_e64 v[2:3], v[2:3], -v[29:30]
	v_add_f64_e32 v[0:1], v[0:1], v[27:28]
	s_delay_alu instid0(VALU_DEP_4) | instskip(NEXT) | instid1(VALU_DEP_4)
	v_mul_f64_e32 v[21:22], 0.5, v[21:22]
	v_mul_f64_e32 v[29:30], 0.5, v[39:40]
	s_delay_alu instid0(VALU_DEP_4) | instskip(SKIP_1) | instid1(VALU_DEP_3)
	v_mul_f64_e32 v[2:3], 0.5, v[2:3]
	s_wait_loadcnt 0x1
	v_mul_f64_e32 v[27:28], v[21:22], v[25:26]
	s_delay_alu instid0(VALU_DEP_2) | instskip(SKIP_1) | instid1(VALU_DEP_3)
	v_fma_f64 v[39:40], v[29:30], v[25:26], v[2:3]
	v_fma_f64 v[2:3], v[29:30], v[25:26], -v[2:3]
	v_fma_f64 v[25:26], v[0:1], 0.5, v[27:28]
	v_fma_f64 v[0:1], v[0:1], 0.5, -v[27:28]
	s_delay_alu instid0(VALU_DEP_4) | instskip(NEXT) | instid1(VALU_DEP_4)
	v_fma_f64 v[27:28], -v[23:24], v[21:22], v[39:40]
	v_fma_f64 v[2:3], -v[23:24], v[21:22], v[2:3]
	global_load_b128 v[19:22], v[19:20], off offset:3472
	v_fma_f64 v[25:26], v[29:30], v[23:24], v[25:26]
	v_fma_f64 v[0:1], -v[29:30], v[23:24], v[0:1]
	ds_store_2addr_b64 v38, v[25:26], v[27:28] offset1:1
	ds_store_b128 v11, v[0:3] offset:3072
	ds_load_b128 v[0:3], v37
	ds_load_b128 v[23:26], v11 offset:2816
	s_wait_dscnt 0x0
	v_add_f64_e64 v[27:28], v[0:1], -v[23:24]
	v_add_f64_e32 v[29:30], v[2:3], v[25:26]
	v_add_f64_e64 v[2:3], v[2:3], -v[25:26]
	v_add_f64_e32 v[0:1], v[0:1], v[23:24]
	s_delay_alu instid0(VALU_DEP_4) | instskip(NEXT) | instid1(VALU_DEP_4)
	v_mul_f64_e32 v[25:26], 0.5, v[27:28]
	v_mul_f64_e32 v[27:28], 0.5, v[29:30]
	s_delay_alu instid0(VALU_DEP_4) | instskip(SKIP_1) | instid1(VALU_DEP_3)
	v_mul_f64_e32 v[2:3], 0.5, v[2:3]
	s_wait_loadcnt 0x1
	v_mul_f64_e32 v[23:24], v[25:26], v[6:7]
	s_delay_alu instid0(VALU_DEP_2) | instskip(SKIP_1) | instid1(VALU_DEP_3)
	v_fma_f64 v[29:30], v[27:28], v[6:7], v[2:3]
	v_fma_f64 v[2:3], v[27:28], v[6:7], -v[2:3]
	v_fma_f64 v[6:7], v[0:1], 0.5, v[23:24]
	v_fma_f64 v[0:1], v[0:1], 0.5, -v[23:24]
	s_delay_alu instid0(VALU_DEP_4) | instskip(NEXT) | instid1(VALU_DEP_4)
	v_fma_f64 v[23:24], -v[4:5], v[25:26], v[29:30]
	v_fma_f64 v[2:3], -v[4:5], v[25:26], v[2:3]
	s_delay_alu instid0(VALU_DEP_4) | instskip(NEXT) | instid1(VALU_DEP_4)
	v_fma_f64 v[25:26], v[27:28], v[4:5], v[6:7]
	v_fma_f64 v[0:1], -v[27:28], v[4:5], v[0:1]
	global_load_b128 v[4:7], v[17:18], off offset:3472
	ds_store_2addr_b64 v37, v[25:26], v[23:24] offset1:1
	ds_store_b128 v11, v[0:3] offset:2816
	ds_load_b128 v[0:3], v36
	ds_load_b128 v[23:26], v11 offset:2560
	s_wait_dscnt 0x0
	v_add_f64_e64 v[17:18], v[0:1], -v[23:24]
	v_add_f64_e32 v[27:28], v[2:3], v[25:26]
	v_add_f64_e64 v[2:3], v[2:3], -v[25:26]
	v_add_f64_e32 v[0:1], v[0:1], v[23:24]
	s_delay_alu instid0(VALU_DEP_4) | instskip(NEXT) | instid1(VALU_DEP_4)
	v_mul_f64_e32 v[17:18], 0.5, v[17:18]
	v_mul_f64_e32 v[25:26], 0.5, v[27:28]
	s_delay_alu instid0(VALU_DEP_4) | instskip(SKIP_1) | instid1(VALU_DEP_3)
	v_mul_f64_e32 v[2:3], 0.5, v[2:3]
	s_wait_loadcnt 0x1
	v_mul_f64_e32 v[23:24], v[17:18], v[21:22]
	s_delay_alu instid0(VALU_DEP_2) | instskip(SKIP_1) | instid1(VALU_DEP_3)
	v_fma_f64 v[27:28], v[25:26], v[21:22], v[2:3]
	v_fma_f64 v[2:3], v[25:26], v[21:22], -v[2:3]
	v_fma_f64 v[21:22], v[0:1], 0.5, v[23:24]
	v_fma_f64 v[0:1], v[0:1], 0.5, -v[23:24]
	s_delay_alu instid0(VALU_DEP_4) | instskip(NEXT) | instid1(VALU_DEP_4)
	v_fma_f64 v[23:24], -v[19:20], v[17:18], v[27:28]
	v_fma_f64 v[2:3], -v[19:20], v[17:18], v[2:3]
	global_load_b128 v[14:17], v[15:16], off offset:3472
	v_fma_f64 v[21:22], v[25:26], v[19:20], v[21:22]
	v_fma_f64 v[0:1], -v[25:26], v[19:20], v[0:1]
	ds_store_2addr_b64 v36, v[21:22], v[23:24] offset1:1
	ds_store_b128 v11, v[0:3] offset:2560
	ds_load_b128 v[0:3], v35
	ds_load_b128 v[18:21], v11 offset:2304
	s_wait_dscnt 0x0
	v_add_f64_e64 v[22:23], v[0:1], -v[18:19]
	v_add_f64_e32 v[24:25], v[2:3], v[20:21]
	v_add_f64_e64 v[2:3], v[2:3], -v[20:21]
	v_add_f64_e32 v[0:1], v[0:1], v[18:19]
	s_delay_alu instid0(VALU_DEP_4) | instskip(NEXT) | instid1(VALU_DEP_4)
	v_mul_f64_e32 v[20:21], 0.5, v[22:23]
	v_mul_f64_e32 v[22:23], 0.5, v[24:25]
	s_delay_alu instid0(VALU_DEP_4) | instskip(SKIP_1) | instid1(VALU_DEP_3)
	v_mul_f64_e32 v[2:3], 0.5, v[2:3]
	s_wait_loadcnt 0x1
	v_mul_f64_e32 v[18:19], v[20:21], v[6:7]
	s_delay_alu instid0(VALU_DEP_2) | instskip(SKIP_1) | instid1(VALU_DEP_3)
	v_fma_f64 v[24:25], v[22:23], v[6:7], v[2:3]
	v_fma_f64 v[2:3], v[22:23], v[6:7], -v[2:3]
	v_fma_f64 v[6:7], v[0:1], 0.5, v[18:19]
	v_fma_f64 v[0:1], v[0:1], 0.5, -v[18:19]
	s_delay_alu instid0(VALU_DEP_4) | instskip(NEXT) | instid1(VALU_DEP_4)
	v_fma_f64 v[18:19], -v[4:5], v[20:21], v[24:25]
	v_fma_f64 v[2:3], -v[4:5], v[20:21], v[2:3]
	s_delay_alu instid0(VALU_DEP_4) | instskip(NEXT) | instid1(VALU_DEP_4)
	v_fma_f64 v[6:7], v[22:23], v[4:5], v[6:7]
	v_fma_f64 v[0:1], -v[22:23], v[4:5], v[0:1]
	ds_store_2addr_b64 v35, v[6:7], v[18:19] offset1:1
	ds_store_b128 v11, v[0:3] offset:2304
	ds_load_b128 v[0:3], v34
	ds_load_b128 v[4:7], v11 offset:2048
	s_wait_dscnt 0x0
	v_add_f64_e64 v[18:19], v[0:1], -v[4:5]
	v_add_f64_e32 v[20:21], v[2:3], v[6:7]
	v_add_f64_e64 v[2:3], v[2:3], -v[6:7]
	v_add_f64_e32 v[0:1], v[0:1], v[4:5]
	s_delay_alu instid0(VALU_DEP_4) | instskip(NEXT) | instid1(VALU_DEP_4)
	v_mul_f64_e32 v[6:7], 0.5, v[18:19]
	v_mul_f64_e32 v[18:19], 0.5, v[20:21]
	s_delay_alu instid0(VALU_DEP_4) | instskip(SKIP_1) | instid1(VALU_DEP_3)
	v_mul_f64_e32 v[2:3], 0.5, v[2:3]
	s_wait_loadcnt 0x0
	v_mul_f64_e32 v[4:5], v[6:7], v[16:17]
	s_delay_alu instid0(VALU_DEP_2) | instskip(SKIP_1) | instid1(VALU_DEP_3)
	v_fma_f64 v[20:21], v[18:19], v[16:17], v[2:3]
	v_fma_f64 v[2:3], v[18:19], v[16:17], -v[2:3]
	v_fma_f64 v[16:17], v[0:1], 0.5, v[4:5]
	v_fma_f64 v[0:1], v[0:1], 0.5, -v[4:5]
	s_delay_alu instid0(VALU_DEP_4) | instskip(NEXT) | instid1(VALU_DEP_4)
	v_fma_f64 v[4:5], -v[14:15], v[6:7], v[20:21]
	v_fma_f64 v[2:3], -v[14:15], v[6:7], v[2:3]
	s_delay_alu instid0(VALU_DEP_4) | instskip(NEXT) | instid1(VALU_DEP_4)
	v_fma_f64 v[6:7], v[18:19], v[14:15], v[16:17]
	v_fma_f64 v[0:1], -v[18:19], v[14:15], v[0:1]
	ds_store_2addr_b64 v34, v[6:7], v[4:5] offset1:1
	ds_store_b128 v11, v[0:3] offset:2048
	global_wb scope:SCOPE_SE
	s_wait_dscnt 0x0
	s_barrier_signal -1
	s_barrier_wait -1
	global_inv scope:SCOPE_SE
	s_and_saveexec_b32 s0, vcc_lo
	s_cbranch_execz .LBB0_20
; %bb.18:
	v_mul_lo_u32 v2, s3, v12
	v_mul_lo_u32 v3, s2, v13
	v_mad_co_u64_u32 v[0:1], null, s2, v12, 0
	v_dual_mov_b32 v11, 0 :: v_dual_add_nc_u32 v16, 16, v10
	v_lshlrev_b64_e32 v[7:8], 4, v[8:9]
	v_add_nc_u32_e32 v28, 0x50, v10
	s_delay_alu instid0(VALU_DEP_3)
	v_dual_mov_b32 v31, v11 :: v_dual_add_nc_u32 v30, 0x60, v10
	v_add3_u32 v1, v1, v3, v2
	v_lshl_add_u32 v2, v10, 4, v32
	v_mov_b32_e32 v17, v11
	ds_load_b128 v[3:6], v2
	ds_load_b128 v[12:15], v2 offset:256
	v_lshlrev_b64_e32 v[0:1], 4, v[0:1]
	v_lshlrev_b64_e32 v[18:19], 4, v[10:11]
	v_mov_b32_e32 v29, v11
	s_delay_alu instid0(VALU_DEP_3) | instskip(SKIP_1) | instid1(VALU_DEP_4)
	v_add_co_u32 v0, vcc_lo, s6, v0
	s_wait_alu 0xfffd
	v_add_co_ci_u32_e32 v1, vcc_lo, s7, v1, vcc_lo
	s_delay_alu instid0(VALU_DEP_3) | instskip(NEXT) | instid1(VALU_DEP_3)
	v_lshlrev_b64_e32 v[28:29], 4, v[28:29]
	v_add_co_u32 v0, vcc_lo, v0, v7
	s_wait_alu 0xfffd
	s_delay_alu instid0(VALU_DEP_3) | instskip(SKIP_1) | instid1(VALU_DEP_3)
	v_add_co_ci_u32_e32 v1, vcc_lo, v1, v8, vcc_lo
	v_lshlrev_b64_e32 v[7:8], 4, v[16:17]
	v_add_co_u32 v16, vcc_lo, v0, v18
	v_add_nc_u32_e32 v18, 32, v10
	s_wait_alu 0xfffd
	v_add_co_ci_u32_e32 v17, vcc_lo, v1, v19, vcc_lo
	s_delay_alu instid0(VALU_DEP_4)
	v_add_co_u32 v7, vcc_lo, v0, v7
	v_mov_b32_e32 v19, v11
	s_wait_alu 0xfffd
	v_add_co_ci_u32_e32 v8, vcc_lo, v1, v8, vcc_lo
	s_wait_dscnt 0x1
	global_store_b128 v[16:17], v[3:6], off
	s_wait_dscnt 0x0
	global_store_b128 v[7:8], v[12:15], off
	v_mov_b32_e32 v8, v11
	v_lshlrev_b64_e32 v[3:4], 4, v[18:19]
	v_dual_mov_b32 v17, v11 :: v_dual_add_nc_u32 v16, 64, v10
	v_add_nc_u32_e32 v7, 48, v10
	s_delay_alu instid0(VALU_DEP_3) | instskip(SKIP_1) | instid1(VALU_DEP_4)
	v_add_co_u32 v24, vcc_lo, v0, v3
	s_wait_alu 0xfffd
	v_add_co_ci_u32_e32 v25, vcc_lo, v1, v4, vcc_lo
	ds_load_b128 v[3:6], v2 offset:512
	ds_load_b128 v[12:15], v2 offset:768
	v_lshlrev_b64_e32 v[26:27], 4, v[16:17]
	ds_load_b128 v[16:19], v2 offset:1024
	ds_load_b128 v[20:23], v2 offset:1280
	v_lshlrev_b64_e32 v[7:8], 4, v[7:8]
	s_delay_alu instid0(VALU_DEP_1) | instskip(SKIP_1) | instid1(VALU_DEP_2)
	v_add_co_u32 v7, vcc_lo, v0, v7
	s_wait_alu 0xfffd
	v_add_co_ci_u32_e32 v8, vcc_lo, v1, v8, vcc_lo
	v_add_co_u32 v26, vcc_lo, v0, v26
	s_wait_alu 0xfffd
	v_add_co_ci_u32_e32 v27, vcc_lo, v1, v27, vcc_lo
	;; [unrolled: 3-line block ×3, first 2 shown]
	s_wait_dscnt 0x3
	global_store_b128 v[24:25], v[3:6], off
	s_wait_dscnt 0x2
	global_store_b128 v[7:8], v[12:15], off
	s_wait_dscnt 0x1
	global_store_b128 v[26:27], v[16:19], off
	s_wait_dscnt 0x0
	global_store_b128 v[28:29], v[20:23], off
	v_mov_b32_e32 v8, v11
	v_lshlrev_b64_e32 v[3:4], 4, v[30:31]
	v_dual_mov_b32 v17, v11 :: v_dual_add_nc_u32 v16, 0x80, v10
	v_add_nc_u32_e32 v7, 0x70, v10
	v_dual_mov_b32 v29, v11 :: v_dual_add_nc_u32 v28, 0x90, v10
	s_delay_alu instid0(VALU_DEP_4)
	v_add_co_u32 v24, vcc_lo, v0, v3
	s_wait_alu 0xfffd
	v_add_co_ci_u32_e32 v25, vcc_lo, v1, v4, vcc_lo
	ds_load_b128 v[3:6], v2 offset:1536
	ds_load_b128 v[12:15], v2 offset:1792
	v_lshlrev_b64_e32 v[26:27], 4, v[16:17]
	ds_load_b128 v[16:19], v2 offset:2048
	ds_load_b128 v[20:23], v2 offset:2304
	v_lshlrev_b64_e32 v[7:8], 4, v[7:8]
	v_lshlrev_b64_e32 v[28:29], 4, v[28:29]
	v_add_nc_u32_e32 v30, 0xa0, v10
	s_delay_alu instid0(VALU_DEP_3) | instskip(SKIP_1) | instid1(VALU_DEP_4)
	v_add_co_u32 v7, vcc_lo, v0, v7
	s_wait_alu 0xfffd
	v_add_co_ci_u32_e32 v8, vcc_lo, v1, v8, vcc_lo
	v_add_co_u32 v26, vcc_lo, v0, v26
	s_wait_alu 0xfffd
	v_add_co_ci_u32_e32 v27, vcc_lo, v1, v27, vcc_lo
	;; [unrolled: 3-line block ×3, first 2 shown]
	s_wait_dscnt 0x3
	global_store_b128 v[24:25], v[3:6], off
	s_wait_dscnt 0x2
	global_store_b128 v[7:8], v[12:15], off
	;; [unrolled: 2-line block ×4, first 2 shown]
	v_mov_b32_e32 v17, v11
	v_lshlrev_b64_e32 v[3:4], 4, v[30:31]
	v_dual_mov_b32 v8, v11 :: v_dual_add_nc_u32 v7, 0xb0, v10
	v_dual_mov_b32 v29, v11 :: v_dual_add_nc_u32 v16, 0xc0, v10
	v_add_nc_u32_e32 v28, 0xd0, v10
	s_delay_alu instid0(VALU_DEP_4)
	v_add_co_u32 v24, vcc_lo, v0, v3
	s_wait_alu 0xfffd
	v_add_co_ci_u32_e32 v25, vcc_lo, v1, v4, vcc_lo
	ds_load_b128 v[3:6], v2 offset:2560
	ds_load_b128 v[12:15], v2 offset:2816
	v_lshlrev_b64_e32 v[7:8], 4, v[7:8]
	v_lshlrev_b64_e32 v[26:27], 4, v[16:17]
	ds_load_b128 v[16:19], v2 offset:3072
	ds_load_b128 v[20:23], v2 offset:3328
	v_lshlrev_b64_e32 v[28:29], 4, v[28:29]
	v_add_co_u32 v7, vcc_lo, v0, v7
	s_wait_alu 0xfffd
	v_add_co_ci_u32_e32 v8, vcc_lo, v1, v8, vcc_lo
	v_add_co_u32 v26, vcc_lo, v0, v26
	s_wait_alu 0xfffd
	v_add_co_ci_u32_e32 v27, vcc_lo, v1, v27, vcc_lo
	;; [unrolled: 3-line block ×3, first 2 shown]
	v_cmp_eq_u32_e32 vcc_lo, 15, v10
	s_wait_dscnt 0x3
	global_store_b128 v[24:25], v[3:6], off
	s_wait_dscnt 0x2
	global_store_b128 v[7:8], v[12:15], off
	;; [unrolled: 2-line block ×4, first 2 shown]
	s_and_b32 exec_lo, exec_lo, vcc_lo
	s_cbranch_execz .LBB0_20
; %bb.19:
	ds_load_b128 v[2:5], v2 offset:3344
	s_wait_dscnt 0x0
	global_store_b128 v[0:1], v[2:5], off offset:3584
.LBB0_20:
	s_nop 0
	s_sendmsg sendmsg(MSG_DEALLOC_VGPRS)
	s_endpgm
	.section	.rodata,"a",@progbits
	.p2align	6, 0x0
	.amdhsa_kernel fft_rtc_back_len224_factors_7_2_2_2_2_2_wgs_64_tpt_16_halfLds_dp_op_CI_CI_unitstride_sbrr_R2C_dirReg
		.amdhsa_group_segment_fixed_size 0
		.amdhsa_private_segment_fixed_size 0
		.amdhsa_kernarg_size 104
		.amdhsa_user_sgpr_count 2
		.amdhsa_user_sgpr_dispatch_ptr 0
		.amdhsa_user_sgpr_queue_ptr 0
		.amdhsa_user_sgpr_kernarg_segment_ptr 1
		.amdhsa_user_sgpr_dispatch_id 0
		.amdhsa_user_sgpr_private_segment_size 0
		.amdhsa_wavefront_size32 1
		.amdhsa_uses_dynamic_stack 0
		.amdhsa_enable_private_segment 0
		.amdhsa_system_sgpr_workgroup_id_x 1
		.amdhsa_system_sgpr_workgroup_id_y 0
		.amdhsa_system_sgpr_workgroup_id_z 0
		.amdhsa_system_sgpr_workgroup_info 0
		.amdhsa_system_vgpr_workitem_id 0
		.amdhsa_next_free_vgpr 131
		.amdhsa_next_free_sgpr 39
		.amdhsa_reserve_vcc 1
		.amdhsa_float_round_mode_32 0
		.amdhsa_float_round_mode_16_64 0
		.amdhsa_float_denorm_mode_32 3
		.amdhsa_float_denorm_mode_16_64 3
		.amdhsa_fp16_overflow 0
		.amdhsa_workgroup_processor_mode 1
		.amdhsa_memory_ordered 1
		.amdhsa_forward_progress 0
		.amdhsa_round_robin_scheduling 0
		.amdhsa_exception_fp_ieee_invalid_op 0
		.amdhsa_exception_fp_denorm_src 0
		.amdhsa_exception_fp_ieee_div_zero 0
		.amdhsa_exception_fp_ieee_overflow 0
		.amdhsa_exception_fp_ieee_underflow 0
		.amdhsa_exception_fp_ieee_inexact 0
		.amdhsa_exception_int_div_zero 0
	.end_amdhsa_kernel
	.text
.Lfunc_end0:
	.size	fft_rtc_back_len224_factors_7_2_2_2_2_2_wgs_64_tpt_16_halfLds_dp_op_CI_CI_unitstride_sbrr_R2C_dirReg, .Lfunc_end0-fft_rtc_back_len224_factors_7_2_2_2_2_2_wgs_64_tpt_16_halfLds_dp_op_CI_CI_unitstride_sbrr_R2C_dirReg
                                        ; -- End function
	.section	.AMDGPU.csdata,"",@progbits
; Kernel info:
; codeLenInByte = 12012
; NumSgprs: 41
; NumVgprs: 131
; ScratchSize: 0
; MemoryBound: 0
; FloatMode: 240
; IeeeMode: 1
; LDSByteSize: 0 bytes/workgroup (compile time only)
; SGPRBlocks: 5
; VGPRBlocks: 16
; NumSGPRsForWavesPerEU: 41
; NumVGPRsForWavesPerEU: 131
; Occupancy: 10
; WaveLimiterHint : 1
; COMPUTE_PGM_RSRC2:SCRATCH_EN: 0
; COMPUTE_PGM_RSRC2:USER_SGPR: 2
; COMPUTE_PGM_RSRC2:TRAP_HANDLER: 0
; COMPUTE_PGM_RSRC2:TGID_X_EN: 1
; COMPUTE_PGM_RSRC2:TGID_Y_EN: 0
; COMPUTE_PGM_RSRC2:TGID_Z_EN: 0
; COMPUTE_PGM_RSRC2:TIDIG_COMP_CNT: 0
	.text
	.p2alignl 7, 3214868480
	.fill 96, 4, 3214868480
	.type	__hip_cuid_16f89084d4703122,@object ; @__hip_cuid_16f89084d4703122
	.section	.bss,"aw",@nobits
	.globl	__hip_cuid_16f89084d4703122
__hip_cuid_16f89084d4703122:
	.byte	0                               ; 0x0
	.size	__hip_cuid_16f89084d4703122, 1

	.ident	"AMD clang version 19.0.0git (https://github.com/RadeonOpenCompute/llvm-project roc-6.4.0 25133 c7fe45cf4b819c5991fe208aaa96edf142730f1d)"
	.section	".note.GNU-stack","",@progbits
	.addrsig
	.addrsig_sym __hip_cuid_16f89084d4703122
	.amdgpu_metadata
---
amdhsa.kernels:
  - .args:
      - .actual_access:  read_only
        .address_space:  global
        .offset:         0
        .size:           8
        .value_kind:     global_buffer
      - .offset:         8
        .size:           8
        .value_kind:     by_value
      - .actual_access:  read_only
        .address_space:  global
        .offset:         16
        .size:           8
        .value_kind:     global_buffer
      - .actual_access:  read_only
        .address_space:  global
        .offset:         24
        .size:           8
        .value_kind:     global_buffer
      - .actual_access:  read_only
        .address_space:  global
        .offset:         32
        .size:           8
        .value_kind:     global_buffer
      - .offset:         40
        .size:           8
        .value_kind:     by_value
      - .actual_access:  read_only
        .address_space:  global
        .offset:         48
        .size:           8
        .value_kind:     global_buffer
      - .actual_access:  read_only
        .address_space:  global
        .offset:         56
        .size:           8
        .value_kind:     global_buffer
      - .offset:         64
        .size:           4
        .value_kind:     by_value
      - .actual_access:  read_only
        .address_space:  global
        .offset:         72
        .size:           8
        .value_kind:     global_buffer
      - .actual_access:  read_only
        .address_space:  global
        .offset:         80
        .size:           8
        .value_kind:     global_buffer
      - .actual_access:  read_only
        .address_space:  global
        .offset:         88
        .size:           8
        .value_kind:     global_buffer
      - .actual_access:  write_only
        .address_space:  global
        .offset:         96
        .size:           8
        .value_kind:     global_buffer
    .group_segment_fixed_size: 0
    .kernarg_segment_align: 8
    .kernarg_segment_size: 104
    .language:       OpenCL C
    .language_version:
      - 2
      - 0
    .max_flat_workgroup_size: 64
    .name:           fft_rtc_back_len224_factors_7_2_2_2_2_2_wgs_64_tpt_16_halfLds_dp_op_CI_CI_unitstride_sbrr_R2C_dirReg
    .private_segment_fixed_size: 0
    .sgpr_count:     41
    .sgpr_spill_count: 0
    .symbol:         fft_rtc_back_len224_factors_7_2_2_2_2_2_wgs_64_tpt_16_halfLds_dp_op_CI_CI_unitstride_sbrr_R2C_dirReg.kd
    .uniform_work_group_size: 1
    .uses_dynamic_stack: false
    .vgpr_count:     131
    .vgpr_spill_count: 0
    .wavefront_size: 32
    .workgroup_processor_mode: 1
amdhsa.target:   amdgcn-amd-amdhsa--gfx1201
amdhsa.version:
  - 1
  - 2
...

	.end_amdgpu_metadata
